;; amdgpu-corpus repo=ROCm/rocFFT kind=compiled arch=gfx1100 opt=O3
	.text
	.amdgcn_target "amdgcn-amd-amdhsa--gfx1100"
	.amdhsa_code_object_version 6
	.protected	fft_rtc_back_len450_factors_10_5_3_3_wgs_120_tpt_30_halfLds_dp_ip_CI_sbrr_dirReg ; -- Begin function fft_rtc_back_len450_factors_10_5_3_3_wgs_120_tpt_30_halfLds_dp_ip_CI_sbrr_dirReg
	.globl	fft_rtc_back_len450_factors_10_5_3_3_wgs_120_tpt_30_halfLds_dp_ip_CI_sbrr_dirReg
	.p2align	8
	.type	fft_rtc_back_len450_factors_10_5_3_3_wgs_120_tpt_30_halfLds_dp_ip_CI_sbrr_dirReg,@function
fft_rtc_back_len450_factors_10_5_3_3_wgs_120_tpt_30_halfLds_dp_ip_CI_sbrr_dirReg: ; @fft_rtc_back_len450_factors_10_5_3_3_wgs_120_tpt_30_halfLds_dp_ip_CI_sbrr_dirReg
; %bb.0:
	s_clause 0x2
	s_load_b64 s[12:13], s[0:1], 0x18
	s_load_b128 s[4:7], s[0:1], 0x0
	s_load_b64 s[10:11], s[0:1], 0x50
	v_mul_u32_u24_e32 v1, 0x889, v0
	v_mov_b32_e32 v3, 0
	v_mov_b32_e32 v4, 0
	s_delay_alu instid0(VALU_DEP_3) | instskip(SKIP_1) | instid1(VALU_DEP_2)
	v_lshrrev_b32_e32 v104, 16, v1
	v_mov_b32_e32 v1, 0
	v_lshl_add_u32 v5, s15, 2, v104
	s_delay_alu instid0(VALU_DEP_2) | instskip(SKIP_3) | instid1(VALU_DEP_1)
	v_mov_b32_e32 v6, v1
	s_waitcnt lgkmcnt(0)
	s_load_b64 s[8:9], s[12:13], 0x0
	v_cmp_lt_u64_e64 s2, s[6:7], 2
	s_and_b32 vcc_lo, exec_lo, s2
	s_cbranch_vccnz .LBB0_8
; %bb.1:
	s_load_b64 s[2:3], s[0:1], 0x10
	v_mov_b32_e32 v3, 0
	s_add_u32 s14, s12, 8
	v_mov_b32_e32 v4, 0
	s_addc_u32 s15, s13, 0
	s_mov_b64 s[18:19], 1
	s_waitcnt lgkmcnt(0)
	s_add_u32 s16, s2, 8
	s_addc_u32 s17, s3, 0
.LBB0_2:                                ; =>This Inner Loop Header: Depth=1
	s_load_b64 s[20:21], s[16:17], 0x0
                                        ; implicit-def: $vgpr7_vgpr8
	s_mov_b32 s2, exec_lo
	s_waitcnt lgkmcnt(0)
	v_or_b32_e32 v2, s21, v6
	s_delay_alu instid0(VALU_DEP_1)
	v_cmpx_ne_u64_e32 0, v[1:2]
	s_xor_b32 s3, exec_lo, s2
	s_cbranch_execz .LBB0_4
; %bb.3:                                ;   in Loop: Header=BB0_2 Depth=1
	v_cvt_f32_u32_e32 v2, s20
	v_cvt_f32_u32_e32 v7, s21
	s_sub_u32 s2, 0, s20
	s_subb_u32 s22, 0, s21
	s_delay_alu instid0(VALU_DEP_1) | instskip(NEXT) | instid1(VALU_DEP_1)
	v_fmac_f32_e32 v2, 0x4f800000, v7
	v_rcp_f32_e32 v2, v2
	s_waitcnt_depctr 0xfff
	v_mul_f32_e32 v2, 0x5f7ffffc, v2
	s_delay_alu instid0(VALU_DEP_1) | instskip(NEXT) | instid1(VALU_DEP_1)
	v_mul_f32_e32 v7, 0x2f800000, v2
	v_trunc_f32_e32 v7, v7
	s_delay_alu instid0(VALU_DEP_1) | instskip(SKIP_1) | instid1(VALU_DEP_2)
	v_fmac_f32_e32 v2, 0xcf800000, v7
	v_cvt_u32_f32_e32 v7, v7
	v_cvt_u32_f32_e32 v2, v2
	s_delay_alu instid0(VALU_DEP_2) | instskip(NEXT) | instid1(VALU_DEP_2)
	v_mul_lo_u32 v8, s2, v7
	v_mul_hi_u32 v9, s2, v2
	v_mul_lo_u32 v10, s22, v2
	s_delay_alu instid0(VALU_DEP_2) | instskip(SKIP_1) | instid1(VALU_DEP_2)
	v_add_nc_u32_e32 v8, v9, v8
	v_mul_lo_u32 v9, s2, v2
	v_add_nc_u32_e32 v8, v8, v10
	s_delay_alu instid0(VALU_DEP_2) | instskip(NEXT) | instid1(VALU_DEP_2)
	v_mul_hi_u32 v10, v2, v9
	v_mul_lo_u32 v11, v2, v8
	v_mul_hi_u32 v12, v2, v8
	v_mul_hi_u32 v13, v7, v9
	v_mul_lo_u32 v9, v7, v9
	v_mul_hi_u32 v14, v7, v8
	v_mul_lo_u32 v8, v7, v8
	v_add_co_u32 v10, vcc_lo, v10, v11
	v_add_co_ci_u32_e32 v11, vcc_lo, 0, v12, vcc_lo
	s_delay_alu instid0(VALU_DEP_2) | instskip(NEXT) | instid1(VALU_DEP_2)
	v_add_co_u32 v9, vcc_lo, v10, v9
	v_add_co_ci_u32_e32 v9, vcc_lo, v11, v13, vcc_lo
	v_add_co_ci_u32_e32 v10, vcc_lo, 0, v14, vcc_lo
	s_delay_alu instid0(VALU_DEP_2) | instskip(NEXT) | instid1(VALU_DEP_2)
	v_add_co_u32 v8, vcc_lo, v9, v8
	v_add_co_ci_u32_e32 v9, vcc_lo, 0, v10, vcc_lo
	s_delay_alu instid0(VALU_DEP_2) | instskip(NEXT) | instid1(VALU_DEP_2)
	v_add_co_u32 v2, vcc_lo, v2, v8
	v_add_co_ci_u32_e32 v7, vcc_lo, v7, v9, vcc_lo
	s_delay_alu instid0(VALU_DEP_2) | instskip(SKIP_1) | instid1(VALU_DEP_3)
	v_mul_hi_u32 v8, s2, v2
	v_mul_lo_u32 v10, s22, v2
	v_mul_lo_u32 v9, s2, v7
	s_delay_alu instid0(VALU_DEP_1) | instskip(SKIP_1) | instid1(VALU_DEP_2)
	v_add_nc_u32_e32 v8, v8, v9
	v_mul_lo_u32 v9, s2, v2
	v_add_nc_u32_e32 v8, v8, v10
	s_delay_alu instid0(VALU_DEP_2) | instskip(NEXT) | instid1(VALU_DEP_2)
	v_mul_hi_u32 v10, v2, v9
	v_mul_lo_u32 v11, v2, v8
	v_mul_hi_u32 v12, v2, v8
	v_mul_hi_u32 v13, v7, v9
	v_mul_lo_u32 v9, v7, v9
	v_mul_hi_u32 v14, v7, v8
	v_mul_lo_u32 v8, v7, v8
	v_add_co_u32 v10, vcc_lo, v10, v11
	v_add_co_ci_u32_e32 v11, vcc_lo, 0, v12, vcc_lo
	s_delay_alu instid0(VALU_DEP_2) | instskip(NEXT) | instid1(VALU_DEP_2)
	v_add_co_u32 v9, vcc_lo, v10, v9
	v_add_co_ci_u32_e32 v9, vcc_lo, v11, v13, vcc_lo
	v_add_co_ci_u32_e32 v10, vcc_lo, 0, v14, vcc_lo
	s_delay_alu instid0(VALU_DEP_2) | instskip(NEXT) | instid1(VALU_DEP_2)
	v_add_co_u32 v8, vcc_lo, v9, v8
	v_add_co_ci_u32_e32 v9, vcc_lo, 0, v10, vcc_lo
	s_delay_alu instid0(VALU_DEP_2) | instskip(NEXT) | instid1(VALU_DEP_2)
	v_add_co_u32 v2, vcc_lo, v2, v8
	v_add_co_ci_u32_e32 v13, vcc_lo, v7, v9, vcc_lo
	s_delay_alu instid0(VALU_DEP_2) | instskip(SKIP_1) | instid1(VALU_DEP_3)
	v_mul_hi_u32 v14, v5, v2
	v_mad_u64_u32 v[9:10], null, v6, v2, 0
	v_mad_u64_u32 v[7:8], null, v5, v13, 0
	v_mad_u64_u32 v[11:12], null, v6, v13, 0
	s_delay_alu instid0(VALU_DEP_2) | instskip(NEXT) | instid1(VALU_DEP_3)
	v_add_co_u32 v2, vcc_lo, v14, v7
	v_add_co_ci_u32_e32 v7, vcc_lo, 0, v8, vcc_lo
	s_delay_alu instid0(VALU_DEP_2) | instskip(NEXT) | instid1(VALU_DEP_2)
	v_add_co_u32 v2, vcc_lo, v2, v9
	v_add_co_ci_u32_e32 v2, vcc_lo, v7, v10, vcc_lo
	v_add_co_ci_u32_e32 v7, vcc_lo, 0, v12, vcc_lo
	s_delay_alu instid0(VALU_DEP_2) | instskip(NEXT) | instid1(VALU_DEP_2)
	v_add_co_u32 v2, vcc_lo, v2, v11
	v_add_co_ci_u32_e32 v9, vcc_lo, 0, v7, vcc_lo
	s_delay_alu instid0(VALU_DEP_2) | instskip(SKIP_1) | instid1(VALU_DEP_3)
	v_mul_lo_u32 v10, s21, v2
	v_mad_u64_u32 v[7:8], null, s20, v2, 0
	v_mul_lo_u32 v11, s20, v9
	s_delay_alu instid0(VALU_DEP_2) | instskip(NEXT) | instid1(VALU_DEP_2)
	v_sub_co_u32 v7, vcc_lo, v5, v7
	v_add3_u32 v8, v8, v11, v10
	s_delay_alu instid0(VALU_DEP_1) | instskip(NEXT) | instid1(VALU_DEP_1)
	v_sub_nc_u32_e32 v10, v6, v8
	v_subrev_co_ci_u32_e64 v10, s2, s21, v10, vcc_lo
	v_add_co_u32 v11, s2, v2, 2
	s_delay_alu instid0(VALU_DEP_1) | instskip(SKIP_3) | instid1(VALU_DEP_3)
	v_add_co_ci_u32_e64 v12, s2, 0, v9, s2
	v_sub_co_u32 v13, s2, v7, s20
	v_sub_co_ci_u32_e32 v8, vcc_lo, v6, v8, vcc_lo
	v_subrev_co_ci_u32_e64 v10, s2, 0, v10, s2
	v_cmp_le_u32_e32 vcc_lo, s20, v13
	s_delay_alu instid0(VALU_DEP_3) | instskip(SKIP_1) | instid1(VALU_DEP_4)
	v_cmp_eq_u32_e64 s2, s21, v8
	v_cndmask_b32_e64 v13, 0, -1, vcc_lo
	v_cmp_le_u32_e32 vcc_lo, s21, v10
	v_cndmask_b32_e64 v14, 0, -1, vcc_lo
	v_cmp_le_u32_e32 vcc_lo, s20, v7
	;; [unrolled: 2-line block ×3, first 2 shown]
	v_cndmask_b32_e64 v15, 0, -1, vcc_lo
	v_cmp_eq_u32_e32 vcc_lo, s21, v10
	s_delay_alu instid0(VALU_DEP_2) | instskip(SKIP_3) | instid1(VALU_DEP_3)
	v_cndmask_b32_e64 v7, v15, v7, s2
	v_cndmask_b32_e32 v10, v14, v13, vcc_lo
	v_add_co_u32 v13, vcc_lo, v2, 1
	v_add_co_ci_u32_e32 v14, vcc_lo, 0, v9, vcc_lo
	v_cmp_ne_u32_e32 vcc_lo, 0, v10
	s_delay_alu instid0(VALU_DEP_2) | instskip(NEXT) | instid1(VALU_DEP_4)
	v_cndmask_b32_e32 v8, v14, v12, vcc_lo
	v_cndmask_b32_e32 v10, v13, v11, vcc_lo
	v_cmp_ne_u32_e32 vcc_lo, 0, v7
	s_delay_alu instid0(VALU_DEP_2)
	v_dual_cndmask_b32 v7, v2, v10 :: v_dual_cndmask_b32 v8, v9, v8
.LBB0_4:                                ;   in Loop: Header=BB0_2 Depth=1
	s_and_not1_saveexec_b32 s2, s3
	s_cbranch_execz .LBB0_6
; %bb.5:                                ;   in Loop: Header=BB0_2 Depth=1
	v_cvt_f32_u32_e32 v2, s20
	s_sub_i32 s3, 0, s20
	s_delay_alu instid0(VALU_DEP_1) | instskip(SKIP_2) | instid1(VALU_DEP_1)
	v_rcp_iflag_f32_e32 v2, v2
	s_waitcnt_depctr 0xfff
	v_mul_f32_e32 v2, 0x4f7ffffe, v2
	v_cvt_u32_f32_e32 v2, v2
	s_delay_alu instid0(VALU_DEP_1) | instskip(NEXT) | instid1(VALU_DEP_1)
	v_mul_lo_u32 v7, s3, v2
	v_mul_hi_u32 v7, v2, v7
	s_delay_alu instid0(VALU_DEP_1) | instskip(NEXT) | instid1(VALU_DEP_1)
	v_add_nc_u32_e32 v2, v2, v7
	v_mul_hi_u32 v2, v5, v2
	s_delay_alu instid0(VALU_DEP_1) | instskip(SKIP_1) | instid1(VALU_DEP_2)
	v_mul_lo_u32 v7, v2, s20
	v_add_nc_u32_e32 v8, 1, v2
	v_sub_nc_u32_e32 v7, v5, v7
	s_delay_alu instid0(VALU_DEP_1) | instskip(SKIP_1) | instid1(VALU_DEP_2)
	v_subrev_nc_u32_e32 v9, s20, v7
	v_cmp_le_u32_e32 vcc_lo, s20, v7
	v_dual_cndmask_b32 v7, v7, v9 :: v_dual_cndmask_b32 v2, v2, v8
	s_delay_alu instid0(VALU_DEP_1) | instskip(NEXT) | instid1(VALU_DEP_2)
	v_cmp_le_u32_e32 vcc_lo, s20, v7
	v_add_nc_u32_e32 v8, 1, v2
	s_delay_alu instid0(VALU_DEP_1)
	v_dual_cndmask_b32 v7, v2, v8 :: v_dual_mov_b32 v8, v1
.LBB0_6:                                ;   in Loop: Header=BB0_2 Depth=1
	s_or_b32 exec_lo, exec_lo, s2
	s_load_b64 s[2:3], s[14:15], 0x0
	s_delay_alu instid0(VALU_DEP_1) | instskip(NEXT) | instid1(VALU_DEP_2)
	v_mul_lo_u32 v2, v8, s20
	v_mul_lo_u32 v11, v7, s21
	v_mad_u64_u32 v[9:10], null, v7, s20, 0
	s_add_u32 s18, s18, 1
	s_addc_u32 s19, s19, 0
	s_add_u32 s14, s14, 8
	s_addc_u32 s15, s15, 0
	;; [unrolled: 2-line block ×3, first 2 shown]
	s_delay_alu instid0(VALU_DEP_1) | instskip(SKIP_1) | instid1(VALU_DEP_2)
	v_add3_u32 v2, v10, v11, v2
	v_sub_co_u32 v9, vcc_lo, v5, v9
	v_sub_co_ci_u32_e32 v2, vcc_lo, v6, v2, vcc_lo
	s_waitcnt lgkmcnt(0)
	s_delay_alu instid0(VALU_DEP_2) | instskip(NEXT) | instid1(VALU_DEP_2)
	v_mul_lo_u32 v10, s3, v9
	v_mul_lo_u32 v2, s2, v2
	v_mad_u64_u32 v[5:6], null, s2, v9, v[3:4]
	v_cmp_ge_u64_e64 s2, s[18:19], s[6:7]
	s_delay_alu instid0(VALU_DEP_1) | instskip(NEXT) | instid1(VALU_DEP_2)
	s_and_b32 vcc_lo, exec_lo, s2
	v_add3_u32 v4, v10, v6, v2
	s_delay_alu instid0(VALU_DEP_3)
	v_mov_b32_e32 v3, v5
	s_cbranch_vccnz .LBB0_9
; %bb.7:                                ;   in Loop: Header=BB0_2 Depth=1
	v_dual_mov_b32 v5, v7 :: v_dual_mov_b32 v6, v8
	s_branch .LBB0_2
.LBB0_8:
	v_dual_mov_b32 v8, v6 :: v_dual_mov_b32 v7, v5
.LBB0_9:
	s_lshl_b64 s[2:3], s[6:7], 3
	v_mul_hi_u32 v5, 0x8888889, v0
	s_add_u32 s2, s12, s2
	s_addc_u32 s3, s13, s3
                                        ; implicit-def: $vgpr62_vgpr63
                                        ; implicit-def: $vgpr58_vgpr59
                                        ; implicit-def: $vgpr70_vgpr71
                                        ; implicit-def: $vgpr66_vgpr67
                                        ; implicit-def: $vgpr78_vgpr79
                                        ; implicit-def: $vgpr74_vgpr75
                                        ; implicit-def: $vgpr54_vgpr55
                                        ; implicit-def: $vgpr42_vgpr43
                                        ; implicit-def: $vgpr14_vgpr15
                                        ; implicit-def: $vgpr10_vgpr11
                                        ; implicit-def: $vgpr30_vgpr31
                                        ; implicit-def: $vgpr26_vgpr27
                                        ; implicit-def: $vgpr34_vgpr35
                                        ; implicit-def: $vgpr38_vgpr39
                                        ; implicit-def: $vgpr46_vgpr47
                                        ; implicit-def: $vgpr50_vgpr51
                                        ; implicit-def: $vgpr22_vgpr23
                                        ; implicit-def: $vgpr18_vgpr19
	s_load_b64 s[2:3], s[2:3], 0x0
	s_load_b64 s[0:1], s[0:1], 0x20
	s_waitcnt lgkmcnt(0)
	v_mul_lo_u32 v6, s2, v8
	v_mul_lo_u32 v9, s3, v7
	v_mad_u64_u32 v[1:2], null, s2, v7, v[3:4]
	v_mul_u32_u24_e32 v3, 30, v5
	v_cmp_gt_u64_e32 vcc_lo, s[0:1], v[7:8]
	s_delay_alu instid0(VALU_DEP_2) | instskip(NEXT) | instid1(VALU_DEP_4)
	v_sub_nc_u32_e32 v121, v0, v3
	v_add3_u32 v2, v9, v2, v6
                                        ; implicit-def: $vgpr6_vgpr7
	s_delay_alu instid0(VALU_DEP_2) | instskip(NEXT) | instid1(VALU_DEP_2)
	v_add_nc_u32_e32 v120, 0x5a, v121
	v_lshlrev_b64 v[100:101], 4, v[1:2]
	v_add_nc_u32_e32 v123, 0xb4, v121
	v_add_nc_u32_e32 v122, 0x168, v121
                                        ; implicit-def: $vgpr2_vgpr3
	s_and_saveexec_b32 s1, vcc_lo
	s_cbranch_execz .LBB0_13
; %bb.10:
	v_mad_u64_u32 v[8:9], null, s8, v120, 0
	v_add_nc_u32_e32 v7, 45, v121
	v_mad_u64_u32 v[0:1], null, s8, v121, 0
	v_add_nc_u32_e32 v17, 0xe1, v121
	v_add_co_u32 v58, s0, s10, v100
	s_delay_alu instid0(VALU_DEP_4) | instskip(SKIP_1) | instid1(VALU_DEP_4)
	v_mad_u64_u32 v[2:3], null, s8, v7, 0
	v_add_nc_u32_e32 v14, 0x87, v121
	v_mad_u64_u32 v[24:25], null, s8, v17, 0
	v_add_co_ci_u32_e64 v59, s0, s11, v101, s0
	v_add_nc_u32_e32 v31, 0x13b, v121
	v_mad_u64_u32 v[4:5], null, s9, v121, v[1:2]
	v_mov_b32_e32 v1, v3
	v_mad_u64_u32 v[10:11], null, s8, v14, 0
	s_delay_alu instid0(VALU_DEP_4) | instskip(NEXT) | instid1(VALU_DEP_3)
	v_mad_u64_u32 v[28:29], null, s8, v31, 0
	v_mad_u64_u32 v[5:6], null, s9, v7, v[1:2]
	v_dual_mov_b32 v1, v4 :: v_dual_mov_b32 v4, v9
	s_delay_alu instid0(VALU_DEP_4) | instskip(SKIP_2) | instid1(VALU_DEP_3)
	v_mov_b32_e32 v6, v11
	s_mov_b32 s2, exec_lo
                                        ; implicit-def: $vgpr40_vgpr41
                                        ; implicit-def: $vgpr52_vgpr53
                                        ; implicit-def: $vgpr72_vgpr73
                                        ; implicit-def: $vgpr76_vgpr77
                                        ; implicit-def: $vgpr64_vgpr65
                                        ; implicit-def: $vgpr68_vgpr69
                                        ; implicit-def: $vgpr56_vgpr57
                                        ; implicit-def: $vgpr60_vgpr61
	v_add_nc_u32_e32 v30, 0x10e, v121
	v_lshlrev_b64 v[0:1], 4, v[0:1]
	v_mad_u64_u32 v[11:12], null, s9, v120, v[4:5]
	v_mad_u64_u32 v[12:13], null, s9, v14, v[6:7]
	;; [unrolled: 1-line block ×3, first 2 shown]
	v_mov_b32_e32 v3, v5
	v_add_co_u32 v0, s0, v58, v0
	v_mov_b32_e32 v9, v11
	v_mad_u64_u32 v[26:27], null, s8, v30, 0
	v_dual_mov_b32 v11, v12 :: v_dual_mov_b32 v12, v14
	v_lshlrev_b64 v[2:3], 4, v[2:3]
	s_delay_alu instid0(VALU_DEP_4) | instskip(SKIP_1) | instid1(VALU_DEP_4)
	v_lshlrev_b64 v[8:9], 4, v[8:9]
	v_add_co_ci_u32_e64 v1, s0, v59, v1, s0
	v_mad_u64_u32 v[14:15], null, s9, v123, v[12:13]
	v_mov_b32_e32 v12, v25
	v_add_co_u32 v4, s0, v58, v2
	s_delay_alu instid0(VALU_DEP_1) | instskip(NEXT) | instid1(VALU_DEP_3)
	v_add_co_ci_u32_e64 v5, s0, v59, v3, s0
	v_mad_u64_u32 v[15:16], null, s9, v17, v[12:13]
	v_mov_b32_e32 v12, v27
	v_lshlrev_b64 v[10:11], 4, v[10:11]
	v_add_co_u32 v8, s0, v58, v8
	s_delay_alu instid0(VALU_DEP_1) | instskip(SKIP_4) | instid1(VALU_DEP_1)
	v_add_co_ci_u32_e64 v9, s0, v59, v9, s0
	s_clause 0x1
	global_load_b128 v[0:3], v[0:1], off
	global_load_b128 v[4:7], v[4:5], off
	v_add_co_u32 v10, s0, v58, v10
	v_add_co_ci_u32_e64 v11, s0, v59, v11, s0
	s_clause 0x1
	global_load_b128 v[16:19], v[8:9], off
	global_load_b128 v[20:23], v[10:11], off
	v_lshlrev_b64 v[8:9], 4, v[13:14]
	v_mad_u64_u32 v[10:11], null, s9, v30, v[12:13]
	v_mad_u64_u32 v[12:13], null, s8, v122, 0
	v_dual_mov_b32 v25, v15 :: v_dual_add_nc_u32 v32, 0x195, v121
	v_mov_b32_e32 v11, v29
	v_add_co_u32 v8, s0, v58, v8
	s_delay_alu instid0(VALU_DEP_3) | instskip(SKIP_1) | instid1(VALU_DEP_4)
	v_lshlrev_b64 v[24:25], 4, v[24:25]
	v_mov_b32_e32 v27, v10
	v_mad_u64_u32 v[14:15], null, s9, v31, v[11:12]
	v_mad_u64_u32 v[30:31], null, s8, v32, 0
	v_mov_b32_e32 v11, v13
	v_add_co_ci_u32_e64 v9, s0, v59, v9, s0
	s_delay_alu instid0(VALU_DEP_4) | instskip(NEXT) | instid1(VALU_DEP_3)
	v_mov_b32_e32 v29, v14
	v_mad_u64_u32 v[13:14], null, s9, v122, v[11:12]
	v_mov_b32_e32 v10, v31
	v_add_co_u32 v14, s0, v58, v24
	s_delay_alu instid0(VALU_DEP_1) | instskip(SKIP_1) | instid1(VALU_DEP_4)
	v_add_co_ci_u32_e64 v15, s0, v59, v25, s0
	v_lshlrev_b64 v[24:25], 4, v[26:27]
	v_mad_u64_u32 v[26:27], null, s9, v32, v[10:11]
	v_lshlrev_b64 v[10:11], 4, v[28:29]
	v_lshlrev_b64 v[12:13], 4, v[12:13]
	s_delay_alu instid0(VALU_DEP_4) | instskip(NEXT) | instid1(VALU_DEP_1)
	v_add_co_u32 v24, s0, v58, v24
	v_add_co_ci_u32_e64 v25, s0, v59, v25, s0
	v_mov_b32_e32 v31, v26
	v_add_co_u32 v10, s0, v58, v10
	s_delay_alu instid0(VALU_DEP_1) | instskip(NEXT) | instid1(VALU_DEP_3)
	v_add_co_ci_u32_e64 v11, s0, v59, v11, s0
	v_lshlrev_b64 v[26:27], 4, v[30:31]
	v_add_co_u32 v12, s0, v58, v12
	s_delay_alu instid0(VALU_DEP_1) | instskip(NEXT) | instid1(VALU_DEP_3)
	v_add_co_ci_u32_e64 v13, s0, v59, v13, s0
	v_add_co_u32 v28, s0, v58, v26
	s_delay_alu instid0(VALU_DEP_1)
	v_add_co_ci_u32_e64 v29, s0, v59, v27, s0
	s_clause 0x5
	global_load_b128 v[48:51], v[8:9], off
	global_load_b128 v[44:47], v[14:15], off
	;; [unrolled: 1-line block ×6, first 2 shown]
                                        ; implicit-def: $vgpr8_vgpr9
                                        ; implicit-def: $vgpr12_vgpr13
	v_cmpx_gt_u32_e32 15, v121
	s_cbranch_execz .LBB0_12
; %bb.11:
	v_add_nc_u32_e32 v52, 0x4b, v121
	v_add_nc_u32_e32 v54, 0x78, v121
	;; [unrolled: 1-line block ×5, first 2 shown]
	v_mad_u64_u32 v[10:11], null, s8, v52, 0
	v_mad_u64_u32 v[12:13], null, s8, v54, 0
	v_add_nc_u32_e32 v40, 30, v121
	v_mad_u64_u32 v[60:61], null, s8, v66, 0
	v_add_nc_u32_e32 v69, 0x12c, v121
	s_delay_alu instid0(VALU_DEP_3) | instskip(SKIP_2) | instid1(VALU_DEP_3)
	v_mad_u64_u32 v[8:9], null, s8, v40, 0
	v_mad_u64_u32 v[42:43], null, s9, v52, v[11:12]
	v_add_nc_u32_e32 v62, 0xd2, v121
	v_mad_u64_u32 v[14:15], null, s9, v40, v[9:10]
	s_delay_alu instid0(VALU_DEP_3) | instskip(NEXT) | instid1(VALU_DEP_3)
	v_mov_b32_e32 v11, v42
	v_mad_u64_u32 v[56:57], null, s8, v62, 0
	v_add_nc_u32_e32 v55, 0xa5, v121
	v_mov_b32_e32 v9, v13
	s_delay_alu instid0(VALU_DEP_2) | instskip(NEXT) | instid1(VALU_DEP_1)
	v_mad_u64_u32 v[40:41], null, s8, v55, 0
	v_mov_b32_e32 v13, v41
	s_delay_alu instid0(VALU_DEP_3) | instskip(SKIP_2) | instid1(VALU_DEP_4)
	v_mad_u64_u32 v[52:53], null, s9, v54, v[9:10]
	v_mov_b32_e32 v9, v14
	v_lshlrev_b64 v[10:11], 4, v[10:11]
	v_mad_u64_u32 v[41:42], null, s9, v55, v[13:14]
	s_delay_alu instid0(VALU_DEP_3) | instskip(SKIP_1) | instid1(VALU_DEP_3)
	v_lshlrev_b64 v[8:9], 4, v[8:9]
	v_dual_mov_b32 v13, v52 :: v_dual_mov_b32 v52, v57
	v_lshlrev_b64 v[40:41], 4, v[40:41]
	s_delay_alu instid0(VALU_DEP_3) | instskip(NEXT) | instid1(VALU_DEP_3)
	v_add_co_u32 v8, s0, v58, v8
	v_lshlrev_b64 v[42:43], 4, v[12:13]
	v_add_co_ci_u32_e64 v9, s0, v59, v9, s0
	v_add_co_u32 v14, s0, v58, v10
	s_delay_alu instid0(VALU_DEP_1) | instskip(NEXT) | instid1(VALU_DEP_4)
	v_add_co_ci_u32_e64 v15, s0, v59, v11, s0
	v_add_co_u32 v42, s0, v58, v42
	v_mad_u64_u32 v[53:54], null, s9, v62, v[52:53]
	v_add_co_ci_u32_e64 v43, s0, v59, v43, s0
	v_add_co_u32 v54, s0, v58, v40
	v_mov_b32_e32 v40, v61
	s_delay_alu instid0(VALU_DEP_4) | instskip(SKIP_1) | instid1(VALU_DEP_3)
	v_dual_mov_b32 v57, v53 :: v_dual_add_nc_u32 v72, 0x159, v121
	v_mad_u64_u32 v[62:63], null, s8, v69, 0
	v_mad_u64_u32 v[64:65], null, s9, v66, v[40:41]
	s_delay_alu instid0(VALU_DEP_3) | instskip(NEXT) | instid1(VALU_DEP_4)
	v_mad_u64_u32 v[65:66], null, s8, v72, 0
	v_lshlrev_b64 v[56:57], 4, v[56:57]
	v_add_co_ci_u32_e64 v55, s0, v59, v41, s0
	s_clause 0x1
	global_load_b128 v[8:11], v[8:9], off
	global_load_b128 v[12:15], v[14:15], off
	v_mad_u64_u32 v[67:68], null, s9, v69, v[63:64]
	v_mov_b32_e32 v63, v66
	v_mov_b32_e32 v61, v64
	v_mad_u64_u32 v[68:69], null, s8, v73, 0
	v_add_co_u32 v56, s0, v58, v56
	s_delay_alu instid0(VALU_DEP_4) | instskip(SKIP_1) | instid1(VALU_DEP_4)
	v_mad_u64_u32 v[70:71], null, s9, v72, v[63:64]
	v_mad_u64_u32 v[71:72], null, s8, v74, 0
	v_dual_mov_b32 v64, v69 :: v_dual_mov_b32 v63, v67
	v_lshlrev_b64 v[60:61], 4, v[60:61]
	v_add_co_ci_u32_e64 v57, s0, v59, v57, s0
	v_mov_b32_e32 v66, v70
	s_delay_alu instid0(VALU_DEP_4) | instskip(SKIP_3) | instid1(VALU_DEP_1)
	v_mad_u64_u32 v[69:70], null, s9, v73, v[64:65]
	v_mov_b32_e32 v64, v72
	v_lshlrev_b64 v[62:63], 4, v[62:63]
	v_add_co_u32 v60, s0, v58, v60
	v_add_co_ci_u32_e64 v61, s0, v59, v61, s0
	s_delay_alu instid0(VALU_DEP_4) | instskip(SKIP_2) | instid1(VALU_DEP_1)
	v_mad_u64_u32 v[72:73], null, s9, v74, v[64:65]
	v_lshlrev_b64 v[64:65], 4, v[65:66]
	v_add_co_u32 v62, s0, v58, v62
	v_add_co_ci_u32_e64 v63, s0, v59, v63, s0
	v_lshlrev_b64 v[66:67], 4, v[68:69]
	s_delay_alu instid0(VALU_DEP_4) | instskip(NEXT) | instid1(VALU_DEP_1)
	v_add_co_u32 v68, s0, v58, v64
	v_add_co_ci_u32_e64 v69, s0, v59, v65, s0
	v_lshlrev_b64 v[64:65], 4, v[71:72]
	s_delay_alu instid0(VALU_DEP_4) | instskip(NEXT) | instid1(VALU_DEP_1)
	v_add_co_u32 v80, s0, v58, v66
	v_add_co_ci_u32_e64 v81, s0, v59, v67, s0
	s_clause 0x1
	global_load_b128 v[40:43], v[42:43], off
	global_load_b128 v[52:55], v[54:55], off
	v_add_co_u32 v82, s0, v58, v64
	s_delay_alu instid0(VALU_DEP_1)
	v_add_co_ci_u32_e64 v83, s0, v59, v65, s0
	s_clause 0x5
	global_load_b128 v[72:75], v[56:57], off
	global_load_b128 v[76:79], v[60:61], off
	;; [unrolled: 1-line block ×6, first 2 shown]
.LBB0_12:
	s_or_b32 exec_lo, exec_lo, s2
.LBB0_13:
	s_delay_alu instid0(SALU_CYCLE_1)
	s_or_b32 exec_lo, exec_lo, s1
	s_waitcnt vmcnt(2)
	v_add_f64 v[80:81], v[34:35], v[46:47]
	s_waitcnt vmcnt(0)
	v_add_f64 v[82:83], v[30:31], v[22:23]
	v_add_f64 v[84:85], v[32:33], v[44:45]
	;; [unrolled: 1-line block ×3, first 2 shown]
	v_add_f64 v[88:89], v[20:21], -v[28:29]
	v_add_f64 v[90:91], v[44:45], -v[32:33]
	s_mov_b32 s6, 0x134454ff
	s_mov_b32 s7, 0xbfee6f0e
	;; [unrolled: 1-line block ×4, first 2 shown]
	v_add_f64 v[92:93], v[36:37], v[48:49]
	v_add_f64 v[94:95], v[24:25], v[16:17]
	v_add_f64 v[96:97], v[22:23], -v[46:47]
	v_add_f64 v[98:99], v[30:31], -v[34:35]
	;; [unrolled: 1-line block ×6, first 2 shown]
	s_mov_b32 s14, 0x4755a5e
	s_mov_b32 s15, 0xbfe2cf23
	;; [unrolled: 1-line block ×4, first 2 shown]
	v_add_f64 v[115:116], v[18:19], -v[26:27]
	v_add_f64 v[117:118], v[20:21], -v[44:45]
	;; [unrolled: 1-line block ×6, first 2 shown]
	v_add_f64 v[132:133], v[16:17], v[0:1]
	v_add_f64 v[134:135], v[60:61], v[52:53]
	;; [unrolled: 1-line block ×4, first 2 shown]
	s_mov_b32 s16, 0x372fe950
	s_mov_b32 s17, 0x3fd3c6ef
	v_add_f64 v[140:141], v[36:37], -v[24:25]
	v_add_f64 v[142:143], v[52:53], -v[76:77]
	;; [unrolled: 1-line block ×4, first 2 shown]
	v_fma_f64 v[80:81], v[80:81], -0.5, v[6:7]
	v_fma_f64 v[82:83], v[82:83], -0.5, v[6:7]
	;; [unrolled: 1-line block ×4, first 2 shown]
	v_add_f64 v[4:5], v[20:21], v[4:5]
	v_add_f64 v[20:21], v[68:69], v[76:77]
	v_add_f64 v[148:149], v[78:79], -v[70:71]
	v_add_f64 v[150:151], v[52:53], -v[60:61]
	;; [unrolled: 1-line block ×4, first 2 shown]
	v_fma_f64 v[92:93], v[92:93], -0.5, v[0:1]
	v_fma_f64 v[0:1], v[94:95], -0.5, v[0:1]
	s_mov_b32 s18, 0x9b97f4a8
	v_add_f64 v[96:97], v[98:99], v[96:97]
	s_mov_b32 s19, 0x3fe9e377
	s_mov_b32 s23, 0xbfe9e377
	v_add_f64 v[94:95], v[107:108], v[105:106]
	s_mov_b32 s22, s18
	s_mov_b32 s21, 0xbfd3c6ef
	;; [unrolled: 1-line block ×3, first 2 shown]
	v_cmp_gt_u32_e64 s0, 15, v121
	v_add_f64 v[117:118], v[124:125], v[117:118]
	v_add_f64 v[128:129], v[130:131], v[128:129]
	v_add_f64 v[132:133], v[48:49], v[132:133]
	v_fma_f64 v[134:135], v[134:135], -0.5, v[12:13]
	v_fma_f64 v[124:125], v[136:137], -0.5, v[14:15]
	;; [unrolled: 1-line block ×3, first 2 shown]
	v_fma_f64 v[111:112], v[88:89], s[2:3], v[80:81]
	v_fma_f64 v[80:81], v[88:89], s[6:7], v[80:81]
	;; [unrolled: 1-line block ×8, first 2 shown]
	v_add_f64 v[44:45], v[44:45], v[4:5]
	v_fma_f64 v[152:153], v[20:21], -0.5, v[12:13]
	v_fma_f64 v[136:137], v[115:116], s[6:7], v[92:93]
	v_fma_f64 v[92:93], v[115:116], s[2:3], v[92:93]
	;; [unrolled: 1-line block ×9, first 2 shown]
	v_add_f64 v[88:89], v[16:17], -v[48:49]
	v_add_f64 v[90:91], v[24:25], -v[36:37]
	;; [unrolled: 1-line block ×3, first 2 shown]
	v_fma_f64 v[98:99], v[109:110], s[14:15], v[98:99]
	v_fma_f64 v[84:85], v[109:110], s[12:13], v[84:85]
	;; [unrolled: 1-line block ×3, first 2 shown]
	v_add_f64 v[109:110], v[62:63], -v[70:71]
	v_add_f64 v[44:45], v[32:33], v[44:45]
	v_fma_f64 v[136:137], v[126:127], s[14:15], v[136:137]
	v_fma_f64 v[92:93], v[126:127], s[12:13], v[92:93]
	;; [unrolled: 1-line block ×9, first 2 shown]
	v_add_f64 v[80:81], v[76:77], -v[52:53]
	v_add_f64 v[82:83], v[68:69], -v[60:61]
	;; [unrolled: 1-line block ×4, first 2 shown]
	v_add_f64 v[88:89], v[90:91], v[88:89]
	v_add_f64 v[90:91], v[140:141], v[113:114]
	;; [unrolled: 1-line block ×4, first 2 shown]
	v_fma_f64 v[132:133], v[146:147], s[6:7], v[152:153]
	v_fma_f64 v[142:143], v[146:147], s[2:3], v[152:153]
	;; [unrolled: 1-line block ×9, first 2 shown]
	v_add_f64 v[28:29], v[28:29], v[44:45]
	v_mul_f64 v[84:85], v[0:1], s[14:15]
	v_fma_f64 v[98:99], v[128:129], s[16:17], v[105:106]
	v_mul_f64 v[117:118], v[20:21], s[14:15]
	v_fma_f64 v[128:129], v[154:155], s[2:3], v[130:131]
	v_mul_f64 v[105:106], v[4:5], s[6:7]
	v_mul_f64 v[86:87], v[94:95], s[6:7]
	v_add_f64 v[80:81], v[82:83], v[80:81]
	v_add_f64 v[109:110], v[109:110], v[107:108]
	;; [unrolled: 1-line block ×3, first 2 shown]
	v_fma_f64 v[136:137], v[88:89], s[16:17], v[136:137]
	v_fma_f64 v[92:93], v[88:89], s[16:17], v[92:93]
	;; [unrolled: 1-line block ×3, first 2 shown]
	v_add_f64 v[82:83], v[24:25], v[113:114]
	v_fma_f64 v[44:45], v[148:149], s[14:15], v[132:133]
	v_fma_f64 v[111:112], v[148:149], s[12:13], v[142:143]
	;; [unrolled: 1-line block ×13, first 2 shown]
	v_add_f64 v[107:108], v[28:29], v[82:83]
	v_add_f64 v[113:114], v[82:83], -v[28:29]
	v_fma_f64 v[90:91], v[140:141], s[16:17], v[44:45]
	v_fma_f64 v[44:45], v[140:141], s[16:17], v[111:112]
	;; [unrolled: 1-line block ×7, first 2 shown]
	v_and_b32_e32 v28, 3, v104
	v_mul_u32_u24_e32 v29, 10, v121
	s_delay_alu instid0(VALU_DEP_2) | instskip(NEXT) | instid1(VALU_DEP_2)
	v_mul_u32_u24_e32 v28, 0x1c2, v28
	v_lshl_add_u32 v29, v29, 3, 0
	v_add_f64 v[109:110], v[136:137], v[144:145]
	v_add_f64 v[115:116], v[136:137], -v[144:145]
	v_add_f64 v[111:112], v[92:93], v[152:153]
	v_add_f64 v[130:131], v[92:93], -v[152:153]
	v_fma_f64 v[92:93], v[138:139], s[16:17], v[150:151]
	v_add_f64 v[117:118], v[126:127], -v[105:106]
	v_add_f64 v[124:125], v[126:127], v[105:106]
	v_add_f64 v[126:127], v[146:147], v[148:149]
	v_add_f64 v[128:129], v[146:147], -v[148:149]
	v_lshl_add_u32 v106, v28, 3, v29
	ds_store_b128 v106, v[107:110]
	ds_store_b128 v106, v[124:127] offset:16
	ds_store_b128 v106, v[111:114] offset:32
	;; [unrolled: 1-line block ×4, first 2 shown]
	s_and_saveexec_b32 s1, s0
	s_cbranch_execz .LBB0_15
; %bb.14:
	v_add_f64 v[104:105], v[64:65], v[72:73]
	v_add_f64 v[107:108], v[56:57], v[40:41]
	v_add_f64 v[109:110], v[42:43], -v[58:59]
	v_add_f64 v[111:112], v[40:41], v[8:9]
	v_add_f64 v[12:13], v[52:53], v[12:13]
	v_add_f64 v[52:53], v[74:75], -v[66:67]
	v_add_f64 v[113:114], v[56:57], -v[64:65]
	;; [unrolled: 1-line block ×3, first 2 shown]
	v_mul_f64 v[132:133], v[82:83], s[14:15]
	v_mul_f64 v[128:129], v[92:93], s[6:7]
	;; [unrolled: 1-line block ×4, first 2 shown]
	v_fma_f64 v[104:105], v[104:105], -0.5, v[8:9]
	v_fma_f64 v[8:9], v[107:108], -0.5, v[8:9]
	v_add_f64 v[107:108], v[40:41], -v[72:73]
	v_add_f64 v[111:112], v[72:73], v[111:112]
	v_add_f64 v[12:13], v[76:77], v[12:13]
	v_add_f64 v[76:77], v[64:65], -v[56:57]
	v_fma_f64 v[117:118], v[109:110], s[2:3], v[104:105]
	v_fma_f64 v[104:105], v[109:110], s[6:7], v[104:105]
	;; [unrolled: 1-line block ×4, first 2 shown]
	v_add_f64 v[107:108], v[113:114], v[107:108]
	v_add_f64 v[111:112], v[64:65], v[111:112]
	v_add_f64 v[12:13], v[68:69], v[12:13]
	v_add_f64 v[68:69], v[76:77], v[115:116]
	v_fma_f64 v[115:116], v[80:81], s[20:21], v[128:129]
	v_fma_f64 v[76:77], v[52:53], s[12:13], v[117:118]
	;; [unrolled: 1-line block ×6, first 2 shown]
	v_add_f64 v[111:112], v[56:57], v[111:112]
	v_add_f64 v[12:13], v[60:61], v[12:13]
	v_fma_f64 v[60:61], v[90:91], s[18:19], v[132:133]
	v_fma_f64 v[104:105], v[44:45], s[22:23], v[126:127]
	v_fma_f64 v[76:77], v[107:108], s[16:17], v[76:77]
	v_fma_f64 v[52:53], v[107:108], s[16:17], v[52:53]
	v_fma_f64 v[128:129], v[68:69], s[16:17], v[113:114]
	v_fma_f64 v[8:9], v[68:69], s[16:17], v[8:9]
	v_add_f64 v[109:110], v[111:112], -v[12:13]
	v_add_f64 v[111:112], v[12:13], v[111:112]
	v_add_f64 v[107:108], v[76:77], v[104:105]
	;; [unrolled: 1-line block ×3, first 2 shown]
	v_add_f64 v[126:127], v[128:129], -v[124:125]
	v_add_f64 v[130:131], v[8:9], v[115:116]
	v_add_f64 v[128:129], v[128:129], v[124:125]
	v_add_f64 v[124:125], v[52:53], -v[60:61]
	v_add_f64 v[117:118], v[76:77], -v[104:105]
	;; [unrolled: 1-line block ×3, first 2 shown]
	ds_store_b128 v106, v[111:114] offset:2400
	ds_store_b128 v106, v[128:131] offset:2416
	;; [unrolled: 1-line block ×5, first 2 shown]
.LBB0_15:
	s_or_b32 exec_lo, exec_lo, s1
	v_add_f64 v[8:9], v[38:39], v[50:51]
	v_add_f64 v[12:13], v[26:27], v[18:19]
	v_add_f64 v[52:53], v[18:19], v[2:3]
	v_add_f64 v[16:17], v[16:17], -v[24:25]
	v_add_f64 v[6:7], v[22:23], v[6:7]
	v_add_f64 v[22:23], v[48:49], -v[36:37]
	v_add_f64 v[24:25], v[26:27], -v[38:39]
	v_mul_f64 v[60:61], v[98:99], s[2:3]
	v_mul_f64 v[68:69], v[94:95], s[16:17]
	;; [unrolled: 1-line block ×3, first 2 shown]
	v_lshlrev_b32_e32 v129, 3, v28
	s_waitcnt lgkmcnt(0)
	s_barrier
	buffer_gl0_inv
	v_add_nc_u32_e32 v124, 30, v121
	v_fma_f64 v[8:9], v[8:9], -0.5, v[2:3]
	v_fma_f64 v[2:3], v[12:13], -0.5, v[2:3]
	v_add_f64 v[12:13], v[18:19], -v[50:51]
	v_add_f64 v[36:37], v[50:51], v[52:53]
	v_add_f64 v[6:7], v[46:47], v[6:7]
	v_add_f64 v[18:19], v[50:51], -v[18:19]
	v_add_f64 v[46:47], v[38:39], -v[26:27]
	v_mul_f64 v[52:53], v[102:103], s[12:13]
	v_fma_f64 v[4:5], v[4:5], s[16:17], v[60:61]
	v_fma_f64 v[20:21], v[32:33], s[12:13], -v[20:21]
	v_fma_f64 v[48:49], v[16:17], s[2:3], v[8:9]
	v_fma_f64 v[50:51], v[22:23], s[6:7], v[2:3]
	;; [unrolled: 1-line block ×4, first 2 shown]
	v_add_f64 v[12:13], v[24:25], v[12:13]
	v_add_f64 v[24:25], v[38:39], v[36:37]
	;; [unrolled: 1-line block ×4, first 2 shown]
	v_fma_f64 v[0:1], v[0:1], s[18:19], v[52:53]
	v_fma_f64 v[34:35], v[22:23], s[12:13], v[48:49]
	;; [unrolled: 1-line block ×5, first 2 shown]
	v_fma_f64 v[16:17], v[96:97], s[2:3], -v[68:69]
	v_add_f64 v[22:23], v[26:27], v[24:25]
	v_add_f64 v[6:7], v[30:31], v[6:7]
	v_fma_f64 v[24:25], v[12:13], s[16:17], v[34:35]
	v_fma_f64 v[26:27], v[18:19], s[16:17], v[36:37]
	;; [unrolled: 1-line block ×4, first 2 shown]
	v_lshlrev_b32_e32 v12, 3, v121
	v_add_f64 v[36:37], v[6:7], v[22:23]
	v_add_f64 v[48:49], v[22:23], -v[6:7]
	s_delay_alu instid0(VALU_DEP_3)
	v_add3_u32 v125, 0, v129, v12
	ds_load_b64 v[104:105], v125
	v_add_f64 v[38:39], v[24:25], v[0:1]
	v_add_f64 v[50:51], v[26:27], v[4:5]
	;; [unrolled: 1-line block ×4, first 2 shown]
	v_add_f64 v[94:95], v[24:25], -v[0:1]
	v_add_nc_u32_e32 v0, 0, v12
	v_add_f64 v[96:97], v[26:27], -v[4:5]
	v_add_f64 v[107:108], v[2:3], -v[16:17]
	;; [unrolled: 1-line block ×3, first 2 shown]
	s_delay_alu instid0(VALU_DEP_4) | instskip(NEXT) | instid1(VALU_DEP_1)
	v_add_nc_u32_e32 v126, v0, v129
	v_add_nc_u32_e32 v128, 0x800, v126
	ds_load_2addr_b64 v[24:27], v126 offset0:90 offset1:120
	ds_load_2addr_b64 v[4:7], v126 offset0:150 offset1:180
	;; [unrolled: 1-line block ×7, first 2 shown]
	s_waitcnt lgkmcnt(0)
	s_barrier
	buffer_gl0_inv
	ds_store_b128 v106, v[36:39]
	ds_store_b128 v106, v[50:53] offset:16
	ds_store_b128 v106, v[46:49] offset:32
	ds_store_b128 v106, v[94:97] offset:48
	ds_store_b128 v106, v[107:110] offset:64
	s_and_saveexec_b32 s1, s0
	s_cbranch_execz .LBB0_17
; %bb.16:
	v_add_f64 v[8:9], v[66:67], v[74:75]
	v_add_f64 v[12:13], v[58:59], v[42:43]
	;; [unrolled: 1-line block ×3, first 2 shown]
	v_add_f64 v[38:39], v[40:41], -v[56:57]
	v_add_f64 v[14:15], v[54:55], v[14:15]
	v_add_f64 v[40:41], v[72:73], -v[64:65]
	s_mov_b32 s2, 0x134454ff
	s_mov_b32 s3, 0x3fee6f0e
	;; [unrolled: 1-line block ×4, first 2 shown]
	v_add_f64 v[46:47], v[58:59], -v[66:67]
	v_add_f64 v[48:49], v[66:67], -v[58:59]
	s_mov_b32 s16, 0x9b97f4a8
	s_mov_b32 s12, 0x372fe950
	;; [unrolled: 1-line block ×5, first 2 shown]
	v_mul_f64 v[64:65], v[86:87], s[16:17]
	v_mul_f64 v[56:57], v[88:89], s[2:3]
	;; [unrolled: 1-line block ×3, first 2 shown]
	v_fma_f64 v[8:9], v[8:9], -0.5, v[10:11]
	v_fma_f64 v[10:11], v[12:13], -0.5, v[10:11]
	v_add_f64 v[12:13], v[42:43], -v[74:75]
	v_add_f64 v[36:37], v[74:75], v[36:37]
	v_add_f64 v[14:15], v[78:79], v[14:15]
	v_add_f64 v[42:43], v[74:75], -v[42:43]
	v_fma_f64 v[50:51], v[38:39], s[2:3], v[8:9]
	v_fma_f64 v[52:53], v[40:41], s[6:7], v[10:11]
	v_fma_f64 v[10:11], v[40:41], s[2:3], v[10:11]
	v_fma_f64 v[8:9], v[38:39], s[6:7], v[8:9]
	s_mov_b32 s6, 0x4755a5e
	s_mov_b32 s7, 0x3fe2cf23
	;; [unrolled: 1-line block ×3, first 2 shown]
	v_mul_f64 v[54:55], v[90:91], s[6:7]
	v_add_f64 v[12:13], v[46:47], v[12:13]
	v_add_f64 v[36:37], v[66:67], v[36:37]
	v_add_f64 v[14:15], v[70:71], v[14:15]
	v_add_f64 v[42:43], v[48:49], v[42:43]
	v_fma_f64 v[46:47], v[40:41], s[6:7], v[50:51]
	v_fma_f64 v[48:49], v[38:39], s[6:7], v[52:53]
	;; [unrolled: 1-line block ×5, first 2 shown]
	v_fma_f64 v[52:53], v[80:81], s[2:3], -v[60:61]
	v_fma_f64 v[40:41], v[82:83], s[16:17], v[54:55]
	v_fma_f64 v[54:55], v[44:45], s[6:7], -v[64:65]
	v_add_f64 v[36:37], v[58:59], v[36:37]
	v_add_f64 v[14:15], v[62:63], v[14:15]
	v_fma_f64 v[44:45], v[12:13], s[12:13], v[46:47]
	v_fma_f64 v[46:47], v[42:43], s[12:13], v[48:49]
	;; [unrolled: 1-line block ×4, first 2 shown]
	v_add_f64 v[8:9], v[14:15], v[36:37]
	v_add_f64 v[14:15], v[36:37], -v[14:15]
	v_add_f64 v[10:11], v[44:45], v[40:41]
	v_add_f64 v[36:37], v[46:47], v[50:51]
	;; [unrolled: 1-line block ×4, first 2 shown]
	v_add_f64 v[40:41], v[44:45], -v[40:41]
	v_add_f64 v[42:43], v[46:47], -v[50:51]
	;; [unrolled: 1-line block ×4, first 2 shown]
	v_mul_u32_u24_e32 v48, 10, v124
	s_delay_alu instid0(VALU_DEP_1) | instskip(NEXT) | instid1(VALU_DEP_1)
	v_lshlrev_b32_e32 v48, 3, v48
	v_add3_u32 v48, 0, v48, v129
	ds_store_b128 v48, v[8:11]
	ds_store_b128 v48, v[36:39] offset:16
	ds_store_b128 v48, v[12:15] offset:32
	ds_store_b128 v48, v[40:43] offset:48
	ds_store_b128 v48, v[44:47] offset:64
.LBB0_17:
	s_or_b32 exec_lo, exec_lo, s1
	v_dual_mov_b32 v103, 0 :: v_dual_and_b32 v8, 0xff, v124
	v_and_b32_e32 v9, 0xff, v121
	v_add_nc_u32_e32 v127, 60, v121
	s_waitcnt lgkmcnt(0)
	s_delay_alu instid0(VALU_DEP_3)
	v_mul_lo_u16 v8, 0xcd, v8
	s_barrier
	v_mul_lo_u16 v9, 0xcd, v9
	v_and_b32_e32 v10, 0xff, v127
	buffer_gl0_inv
	v_lshrrev_b16 v134, 11, v8
	v_lshlrev_b32_e32 v102, 1, v121
	v_lshrrev_b16 v135, 11, v9
	v_mul_lo_u16 v8, 0xcd, v10
	v_cmp_gt_u32_e64 s0, 20, v121
	v_mul_lo_u16 v9, v134, 10
	s_mov_b32 s6, 0x134454ff
	v_mul_lo_u16 v10, v135, 10
	v_lshrrev_b16 v133, 11, v8
	s_mov_b32 s7, 0xbfee6f0e
	v_sub_nc_u16 v8, v124, v9
	s_mov_b32 s13, 0x3fee6f0e
	v_sub_nc_u16 v9, v121, v10
	v_mul_lo_u16 v10, v133, 10
	v_and_b32_e32 v167, 0xffff, v133
	v_and_b32_e32 v131, 0xff, v8
	s_mov_b32 s12, s6
	v_and_b32_e32 v132, 0xff, v9
	v_sub_nc_u16 v8, v127, v10
	s_mov_b32 s14, 0x4755a5e
	v_lshlrev_b32_e32 v12, 6, v131
	s_mov_b32 s15, 0xbfe2cf23
	v_lshlrev_b32_e32 v13, 6, v132
	v_and_b32_e32 v130, 0xff, v8
	s_mov_b32 s17, 0x3fe2cf23
	s_clause 0x2
	global_load_b128 v[44:47], v12, s[4:5] offset:32
	global_load_b128 v[48:51], v13, s[4:5] offset:32
	global_load_b128 v[68:71], v12, s[4:5]
	s_mov_b32 s16, s14
	v_lshlrev_b32_e32 v14, 6, v130
	s_clause 0x8
	global_load_b128 v[52:55], v13, s[4:5]
	global_load_b128 v[72:75], v12, s[4:5] offset:16
	global_load_b128 v[8:11], v14, s[4:5] offset:16
	;; [unrolled: 1-line block ×6, first 2 shown]
	global_load_b128 v[40:43], v14, s[4:5]
	global_load_b128 v[12:15], v14, s[4:5] offset:48
	ds_load_2addr_b64 v[88:91], v128 offset0:14 offset1:44
	ds_load_2addr_b64 v[92:95], v126 offset0:90 offset1:120
	;; [unrolled: 1-line block ×6, first 2 shown]
	ds_load_b64 v[140:141], v125
	ds_load_2addr_b64 v[136:139], v126 offset0:30 offset1:60
	s_mov_b32 s2, 0x372fe950
	s_mov_b32 s3, 0x3fd3c6ef
	s_waitcnt vmcnt(0) lgkmcnt(0)
	s_barrier
	buffer_gl0_inv
	s_mov_b32 s1, 0x3febb67a
	v_mul_f64 v[112:113], v[92:93], v[54:55]
	v_mul_f64 v[116:117], v[90:91], v[46:47]
	v_mul_f64 v[118:119], v[88:89], v[50:51]
	v_mul_f64 v[106:107], v[82:83], v[66:67]
	v_mul_f64 v[114:115], v[94:95], v[70:71]
	v_mul_f64 v[108:109], v[56:57], v[74:75]
	v_mul_f64 v[110:111], v[58:59], v[10:11]
	v_mul_f64 v[142:143], v[84:85], v[78:79]
	v_mul_f64 v[144:145], v[98:99], v[62:63]
	v_mul_f64 v[146:147], v[96:97], v[38:39]
	v_mul_f64 v[148:149], v[80:81], v[42:43]
	v_mul_f64 v[150:151], v[86:87], v[14:15]
	v_mul_f64 v[54:55], v[24:25], v[54:55]
	v_mul_f64 v[66:67], v[6:7], v[66:67]
	v_mul_f64 v[50:51], v[32:33], v[50:51]
	v_mul_f64 v[62:63], v[22:23], v[62:63]
	v_mul_f64 v[152:153], v[28:29], v[74:75]
	v_mul_f64 v[46:47], v[34:35], v[46:47]
	v_mul_f64 v[70:71], v[26:27], v[70:71]
	v_mul_f64 v[78:79], v[16:17], v[78:79]
	v_mul_f64 v[10:11], v[30:31], v[10:11]
	v_mul_f64 v[38:39], v[20:21], v[38:39]
	v_mul_f64 v[42:43], v[4:5], v[42:43]
	v_mul_f64 v[14:15], v[18:19], v[14:15]
	v_subrev_nc_u32_e32 v75, 20, v121
	v_add_nc_u32_e32 v74, 0x78, v121
	v_fma_f64 v[24:25], v[24:25], v[52:53], v[112:113]
	v_fma_f64 v[34:35], v[34:35], v[44:45], v[116:117]
	;; [unrolled: 1-line block ×4, first 2 shown]
	v_and_b32_e32 v116, 0xff, v120
	v_fma_f64 v[26:27], v[26:27], v[68:69], v[114:115]
	v_fma_f64 v[108:109], v[28:29], v[72:73], v[108:109]
	;; [unrolled: 1-line block ×8, first 2 shown]
	v_fma_f64 v[52:53], v[92:93], v[52:53], -v[54:55]
	v_fma_f64 v[54:55], v[82:83], v[64:65], -v[66:67]
	;; [unrolled: 1-line block ×4, first 2 shown]
	v_mov_b32_e32 v61, v103
	v_mul_lo_u16 v7, v116, 41
	v_fma_f64 v[56:57], v[56:57], v[72:73], -v[152:153]
	v_fma_f64 v[44:45], v[90:91], v[44:45], -v[46:47]
	;; [unrolled: 1-line block ×4, first 2 shown]
	v_lshrrev_b16 v4, 11, v7
	v_fma_f64 v[7:8], v[58:59], v[8:9], -v[10:11]
	v_fma_f64 v[9:10], v[96:97], v[36:37], -v[38:39]
	v_fma_f64 v[36:37], v[80:81], v[40:41], -v[42:43]
	v_fma_f64 v[11:12], v[86:87], v[12:13], -v[14:15]
	v_lshlrev_b64 v[28:29], 4, v[102:103]
	v_add_nc_u32_e32 v102, 20, v102
	v_cndmask_b32_e64 v6, v75, v124, s0
	v_and_b32_e32 v66, 0xffff, v134
	v_and_b32_e32 v15, 0xffff, v135
	;; [unrolled: 1-line block ×3, first 2 shown]
	v_lshlrev_b64 v[62:63], 4, v[102:103]
	v_lshlrev_b32_e32 v60, 1, v6
	v_add_co_u32 v28, s0, s4, v28
	s_delay_alu instid0(VALU_DEP_1) | instskip(NEXT) | instid1(VALU_DEP_3)
	v_add_co_ci_u32_e64 v29, s0, s5, v29, s0
	v_lshlrev_b64 v[38:39], 4, v[60:61]
	v_add_f64 v[13:14], v[106:107], v[32:33]
	v_add_co_u32 v60, s0, s4, v62
	v_add_f64 v[40:41], v[108:109], v[34:35]
	v_add_co_ci_u32_e64 v61, s0, s5, v63, s0
	v_add_f64 v[42:43], v[24:25], v[22:23]
	v_add_f64 v[58:59], v[26:27], v[16:17]
	;; [unrolled: 1-line block ×8, first 2 shown]
	v_mad_u32_u24 v166, 0x190, v66, 0
	v_add_f64 v[118:119], v[2:3], v[110:111]
	v_add_f64 v[114:115], v[52:53], -v[50:51]
	v_add_f64 v[66:67], v[56:57], v[44:45]
	v_add_f64 v[72:73], v[24:25], -v[106:107]
	;; [unrolled: 2-line block ×3, first 2 shown]
	v_add_f64 v[77:78], v[106:107], -v[24:25]
	v_add_f64 v[116:117], v[7:8], v[9:10]
	v_add_f64 v[83:84], v[32:33], -v[22:23]
	v_add_f64 v[133:134], v[36:37], v[11:12]
	v_add_f64 v[97:98], v[26:27], -v[108:109]
	v_add_f64 v[112:113], v[16:17], -v[34:35]
	;; [unrolled: 1-line block ×9, first 2 shown]
	v_add_f64 v[52:53], v[140:141], v[52:53]
	v_add_f64 v[24:25], v[24:25], -v[22:23]
	v_add_f64 v[146:147], v[136:137], v[68:69]
	v_add_f64 v[26:27], v[26:27], -v[16:17]
	v_fma_f64 v[13:14], v[13:14], -0.5, v[104:105]
	v_add_f64 v[162:163], v[30:31], -v[110:111]
	v_add_f64 v[164:165], v[20:21], -v[18:19]
	v_fma_f64 v[40:41], v[40:41], -0.5, v[0:1]
	v_add_f64 v[158:159], v[110:111], -v[30:31]
	v_add_f64 v[110:111], v[110:111], -v[18:19]
	v_fma_f64 v[42:43], v[42:43], -0.5, v[104:105]
	v_fma_f64 v[0:1], v[58:59], -0.5, v[0:1]
	;; [unrolled: 1-line block ×4, first 2 shown]
	v_add_f64 v[85:86], v[85:86], v[106:107]
	v_add_f64 v[87:88], v[87:88], v[108:109]
	v_fma_f64 v[79:80], v[79:80], -0.5, v[140:141]
	v_fma_f64 v[81:82], v[81:82], -0.5, v[140:141]
	v_add_f64 v[140:141], v[138:139], v[36:37]
	v_add_f64 v[106:107], v[106:107], -v[32:33]
	v_add_f64 v[104:105], v[68:69], -v[46:47]
	v_fma_f64 v[66:67], v[66:67], -0.5, v[136:137]
	v_add_f64 v[108:109], v[108:109], -v[34:35]
	v_fma_f64 v[70:71], v[70:71], -0.5, v[136:137]
	v_add_f64 v[58:59], v[36:37], -v[11:12]
	v_add_f64 v[118:119], v[118:119], v[30:31]
	v_fma_f64 v[116:117], v[116:117], -0.5, v[138:139]
	v_add_f64 v[160:161], v[18:19], -v[20:21]
	v_fma_f64 v[133:134], v[133:134], -0.5, v[138:139]
	v_add_f64 v[30:31], v[30:31], -v[20:21]
	v_add_f64 v[72:73], v[72:73], v[75:76]
	v_add_f64 v[75:76], v[77:78], v[83:84]
	;; [unrolled: 1-line block ×4, first 2 shown]
	v_add_f64 v[91:92], v[50:51], -v[48:49]
	v_add_f64 v[95:96], v[48:49], -v[50:51]
	;; [unrolled: 1-line block ×4, first 2 shown]
	v_add_f64 v[52:53], v[52:53], v[54:55]
	v_add_f64 v[54:55], v[36:37], -v[7:8]
	v_add_f64 v[36:37], v[7:8], -v[36:37]
	v_add_f64 v[56:57], v[146:147], v[56:57]
	v_fma_f64 v[135:136], v[114:115], s[6:7], v[13:14]
	v_fma_f64 v[13:14], v[114:115], s[12:13], v[13:14]
	v_add_f64 v[150:151], v[46:47], -v[44:45]
	v_add_f64 v[68:69], v[44:45], -v[46:47]
	v_add_f64 v[162:163], v[162:163], v[164:165]
	v_add_f64 v[146:147], v[11:12], -v[9:10]
	v_fma_f64 v[97:98], v[152:153], s[12:13], v[42:43]
	v_fma_f64 v[42:43], v[152:153], s[6:7], v[42:43]
	;; [unrolled: 1-line block ×5, first 2 shown]
	v_add_f64 v[32:33], v[85:86], v[32:33]
	v_fma_f64 v[85:86], v[24:25], s[12:13], v[79:80]
	v_add_f64 v[34:35], v[87:88], v[34:35]
	v_add_f64 v[7:8], v[140:141], v[7:8]
	v_fma_f64 v[79:80], v[24:25], s[6:7], v[79:80]
	v_fma_f64 v[87:88], v[106:107], s[6:7], v[81:82]
	;; [unrolled: 1-line block ×11, first 2 shown]
	v_add_f64 v[20:21], v[118:119], v[20:21]
	v_fma_f64 v[118:119], v[110:111], s[12:13], v[116:117]
	v_add_f64 v[158:159], v[158:159], v[160:161]
	v_add_f64 v[160:161], v[9:10], -v[11:12]
	v_fma_f64 v[62:63], v[58:59], s[12:13], v[62:63]
	v_fma_f64 v[116:117], v[110:111], s[6:7], v[116:117]
	v_mad_u32_u24 v102, 0x190, v15, 0
	v_mul_lo_u16 v5, v5, 41
	v_add_f64 v[48:49], v[52:53], v[48:49]
	v_mul_lo_u16 v99, v4, 50
	v_lshlrev_b32_e32 v6, 3, v6
	v_add_f64 v[44:45], v[56:57], v[44:45]
	v_fma_f64 v[135:136], v[152:153], s[14:15], v[135:136]
	v_fma_f64 v[13:14], v[152:153], s[16:17], v[13:14]
	;; [unrolled: 1-line block ×4, first 2 shown]
	v_add_f64 v[64:65], v[64:65], v[68:69]
	v_add_f64 v[54:55], v[54:55], v[146:147]
	v_fma_f64 v[97:98], v[114:115], s[14:15], v[97:98]
	v_fma_f64 v[42:43], v[114:115], s[16:17], v[42:43]
	;; [unrolled: 1-line block ×5, first 2 shown]
	v_add_co_u32 v58, s0, s4, v38
	s_delay_alu instid0(VALU_DEP_1)
	v_add_co_ci_u32_e64 v59, s0, s5, v39, s0
	v_add_f64 v[38:39], v[89:90], v[91:92]
	v_add_f64 v[7:8], v[7:8], v[9:10]
	v_fma_f64 v[9:10], v[106:107], s[16:17], v[85:86]
	v_add_f64 v[89:90], v[93:94], v[95:96]
	v_fma_f64 v[52:53], v[106:107], s[14:15], v[79:80]
	v_fma_f64 v[56:57], v[24:25], s[16:17], v[87:88]
	;; [unrolled: 1-line block ×4, first 2 shown]
	v_add_f64 v[91:92], v[148:149], v[150:151]
	v_fma_f64 v[68:69], v[108:109], s[16:17], v[139:140]
	v_fma_f64 v[0:1], v[104:105], s[16:17], v[0:1]
	;; [unrolled: 1-line block ×8, first 2 shown]
	v_add_f64 v[36:37], v[36:37], v[160:161]
	v_fma_f64 v[62:63], v[156:157], s[16:17], v[62:63]
	v_fma_f64 v[30:31], v[30:31], s[14:15], v[116:117]
	v_add_f64 v[22:23], v[32:33], v[22:23]
	v_add_f64 v[15:16], v[34:35], v[16:17]
	;; [unrolled: 1-line block ×3, first 2 shown]
	v_fma_f64 v[19:20], v[72:73], s[2:3], v[135:136]
	v_add_f64 v[48:49], v[48:49], v[50:51]
	v_fma_f64 v[81:82], v[110:111], s[16:17], v[152:153]
	v_fma_f64 v[85:86], v[110:111], s[14:15], v[133:134]
	;; [unrolled: 1-line block ×3, first 2 shown]
	v_add_f64 v[44:45], v[44:45], v[46:47]
	v_fma_f64 v[32:33], v[75:76], s[2:3], v[97:98]
	v_fma_f64 v[34:35], v[75:76], s[2:3], v[42:43]
	;; [unrolled: 1-line block ×3, first 2 shown]
	v_lshrrev_b16 v5, 11, v5
	v_fma_f64 v[2:3], v[162:163], s[2:3], v[2:3]
	v_sub_nc_u16 v99, v120, v99
	v_lshlrev_b32_e32 v21, 3, v132
	v_cmp_lt_u32_e64 s0, 19, v121
	v_mul_lo_u16 v5, v5, 50
	v_add_f64 v[46:47], v[7:8], v[11:12]
	v_fma_f64 v[50:51], v[38:39], s[2:3], v[9:10]
	v_and_b32_e32 v99, 0xff, v99
	v_fma_f64 v[38:39], v[38:39], s[2:3], v[52:53]
	v_fma_f64 v[52:53], v[89:90], s[2:3], v[56:57]
	;; [unrolled: 1-line block ×4, first 2 shown]
	v_sub_nc_u16 v5, v74, v5
	v_fma_f64 v[68:69], v[91:92], s[2:3], v[68:69]
	v_fma_f64 v[0:1], v[83:84], s[2:3], v[0:1]
	;; [unrolled: 1-line block ×11, first 2 shown]
	v_lshlrev_b32_e32 v84, 3, v131
	v_mad_u32_u24 v83, 0x190, v167, 0
	v_and_b32_e32 v5, 0xff, v5
	v_add3_u32 v88, v102, v21, v129
	v_lshlrev_b32_e32 v21, 3, v130
	v_fma_f64 v[81:82], v[36:37], s[2:3], v[81:82]
	v_fma_f64 v[36:37], v[36:37], s[2:3], v[85:86]
	v_add3_u32 v27, v166, v84, v129
	v_lshlrev_b32_e32 v87, 5, v99
	v_lshlrev_b32_e32 v84, 5, v5
	v_add3_u32 v83, v83, v21, v129
	ds_store_2addr_b64 v88, v[22:23], v[19:20] offset1:10
	ds_store_2addr_b64 v88, v[32:33], v[34:35] offset0:20 offset1:30
	ds_store_b64 v88, v[13:14] offset:320
	ds_store_2addr_b64 v27, v[15:16], v[42:43] offset1:10
	ds_store_2addr_b64 v27, v[72:73], v[0:1] offset0:20 offset1:30
	ds_store_b64 v27, v[40:41] offset:320
	;; [unrolled: 3-line block ×3, first 2 shown]
	s_waitcnt lgkmcnt(0)
	s_barrier
	buffer_gl0_inv
	ds_load_b64 v[95:96], v125
	ds_load_2addr_b64 v[0:3], v126 offset0:150 offset1:180
	ds_load_2addr_b64 v[7:10], v128 offset0:14 offset1:44
	;; [unrolled: 1-line block ×7, first 2 shown]
	s_waitcnt lgkmcnt(0)
	s_barrier
	buffer_gl0_inv
	ds_store_2addr_b64 v88, v[48:49], v[50:51] offset1:10
	ds_store_2addr_b64 v88, v[52:53], v[56:57] offset0:20 offset1:30
	ds_store_b64 v88, v[38:39] offset:320
	ds_store_2addr_b64 v27, v[44:45], v[68:69] offset1:10
	ds_store_2addr_b64 v27, v[79:80], v[64:65] offset0:20 offset1:30
	ds_store_b64 v27, v[66:67] offset:320
	;; [unrolled: 3-line block ×3, first 2 shown]
	s_waitcnt lgkmcnt(0)
	s_barrier
	buffer_gl0_inv
	s_clause 0x9
	global_load_b128 v[34:37], v[28:29], off offset:640
	global_load_b128 v[38:41], v[28:29], off offset:656
	;; [unrolled: 1-line block ×6, first 2 shown]
	global_load_b128 v[58:61], v87, s[4:5] offset:640
	global_load_b128 v[62:65], v87, s[4:5] offset:656
	global_load_b128 v[66:69], v84, s[4:5] offset:640
	global_load_b128 v[70:73], v84, s[4:5] offset:656
	ds_load_2addr_b64 v[75:78], v126 offset0:150 offset1:180
	ds_load_2addr_b64 v[79:82], v128 offset0:14 offset1:44
	;; [unrolled: 1-line block ×5, first 2 shown]
	s_mov_b32 s2, 0xe8584caa
	s_mov_b32 s3, 0xbfebb67a
	v_cndmask_b32_e64 v27, 0, 0x4b0, s0
	s_mov_b32 s0, s2
	s_delay_alu instid0(VALU_DEP_1)
	v_add_nc_u32_e32 v27, 0, v27
	s_waitcnt vmcnt(9) lgkmcnt(4)
	v_mul_f64 v[97:98], v[75:76], v[36:37]
	s_waitcnt vmcnt(8) lgkmcnt(3)
	v_mul_f64 v[104:105], v[81:82], v[40:41]
	s_waitcnt vmcnt(7)
	v_mul_f64 v[106:107], v[77:78], v[44:45]
	s_waitcnt vmcnt(6) lgkmcnt(2)
	v_mul_f64 v[108:109], v[83:84], v[48:49]
	s_waitcnt vmcnt(5)
	;; [unrolled: 4-line block ×4, first 2 shown]
	v_mul_f64 v[118:119], v[79:80], v[68:69]
	s_waitcnt vmcnt(0)
	v_mul_f64 v[130:131], v[93:94], v[72:73]
	v_mul_f64 v[36:37], v[0:1], v[36:37]
	;; [unrolled: 1-line block ×11, first 2 shown]
	v_fma_f64 v[97:98], v[0:1], v[34:35], v[97:98]
	v_fma_f64 v[104:105], v[9:10], v[38:39], v[104:105]
	;; [unrolled: 1-line block ×10, first 2 shown]
	v_fma_f64 v[34:35], v[75:76], v[34:35], -v[36:37]
	v_fma_f64 v[36:37], v[81:82], v[38:39], -v[40:41]
	;; [unrolled: 1-line block ×10, first 2 shown]
	ds_load_b64 v[64:65], v125
	ds_load_2addr_b64 v[0:3], v126 offset0:30 offset1:60
	ds_load_2addr_b64 v[7:10], v126 offset0:90 offset1:120
	v_and_b32_e32 v91, 0xffff, v4
	v_lshlrev_b32_e32 v92, 3, v5
	s_waitcnt lgkmcnt(0)
	s_barrier
	buffer_gl0_inv
	v_add_f64 v[68:69], v[95:96], v[97:98]
	v_add_f64 v[54:55], v[97:98], v[104:105]
	;; [unrolled: 1-line block ×11, first 2 shown]
	v_add_f64 v[72:73], v[34:35], -v[36:37]
	v_add_f64 v[70:71], v[38:39], v[40:41]
	v_add_f64 v[89:90], v[38:39], -v[40:41]
	v_add_f64 v[75:76], v[42:43], v[44:45]
	v_add_f64 v[4:5], v[64:65], v[34:35]
	;; [unrolled: 1-line block ×3, first 2 shown]
	v_add_f64 v[34:35], v[97:98], -v[104:105]
	v_add_f64 v[83:84], v[50:51], v[52:53]
	v_add_f64 v[38:39], v[0:1], v[38:39]
	v_add_f64 v[19:20], v[19:20], -v[17:18]
	v_add_f64 v[21:22], v[21:22], -v[30:31]
	v_add_f64 v[68:69], v[68:69], v[104:105]
	v_fma_f64 v[54:55], v[54:55], -0.5, v[95:96]
	v_fma_f64 v[11:12], v[56:57], -0.5, v[11:12]
	v_add_f64 v[56:57], v[42:43], -v[44:45]
	v_fma_f64 v[13:14], v[58:59], -0.5, v[13:14]
	v_add_f64 v[58:59], v[46:47], -v[48:49]
	;; [unrolled: 2-line block ×3, first 2 shown]
	v_fma_f64 v[25:26], v[62:63], -0.5, v[25:26]
	v_add_f64 v[42:43], v[2:3], v[42:43]
	v_add_f64 v[46:47], v[7:8], v[46:47]
	v_fma_f64 v[64:65], v[66:67], -0.5, v[64:65]
	v_add_f64 v[62:63], v[106:107], -v[15:16]
	v_fma_f64 v[0:1], v[70:71], -0.5, v[0:1]
	v_add_f64 v[50:51], v[9:10], v[50:51]
	v_fma_f64 v[2:3], v[75:76], -0.5, v[2:3]
	v_fma_f64 v[7:8], v[79:80], -0.5, v[7:8]
	v_add_f64 v[66:67], v[108:109], -v[32:33]
	v_fma_f64 v[9:10], v[83:84], -0.5, v[9:10]
	v_add_f64 v[15:16], v[77:78], v[15:16]
	v_add_f64 v[17:18], v[81:82], v[17:18]
	;; [unrolled: 1-line block ×6, first 2 shown]
	v_add3_u32 v79, 0, v92, v129
	v_add3_u32 v80, v27, v6, v129
	s_delay_alu instid0(VALU_DEP_2)
	v_add_nc_u32_e32 v82, 0x800, v79
	v_fma_f64 v[70:71], v[72:73], s[2:3], v[54:55]
	v_fma_f64 v[54:55], v[72:73], s[0:1], v[54:55]
	;; [unrolled: 1-line block ×10, first 2 shown]
	v_mad_u32_u24 v60, 0x4b0, v91, 0
	v_lshlrev_b32_e32 v61, 3, v99
	v_add_f64 v[40:41], v[42:43], v[44:45]
	v_add_f64 v[42:43], v[46:47], v[48:49]
	v_fma_f64 v[46:47], v[34:35], s[0:1], v[64:65]
	v_fma_f64 v[34:35], v[34:35], s[2:3], v[64:65]
	;; [unrolled: 1-line block ×3, first 2 shown]
	v_add_f64 v[44:45], v[50:51], v[52:53]
	v_fma_f64 v[50:51], v[62:63], s[2:3], v[0:1]
	v_fma_f64 v[52:53], v[19:20], s[0:1], v[2:3]
	v_add3_u32 v81, v60, v61, v129
	v_fma_f64 v[60:61], v[19:20], s[2:3], v[2:3]
	v_fma_f64 v[62:63], v[21:22], s[0:1], v[7:8]
	;; [unrolled: 1-line block ×5, first 2 shown]
	ds_store_2addr_b64 v126, v[68:69], v[70:71] offset1:50
	ds_store_b64 v126, v[54:55] offset:800
	ds_store_2addr_b64 v80, v[15:16], v[72:73] offset1:50
	ds_store_b64 v80, v[11:12] offset:800
	ds_store_2addr_b64 v126, v[17:18], v[75:76] offset0:160 offset1:210
	ds_store_b64 v126, v[13:14] offset:2080
	ds_store_2addr_b64 v81, v[30:31], v[56:57] offset1:50
	ds_store_b64 v81, v[23:24] offset:800
	ds_store_2addr_b64 v82, v[32:33], v[58:59] offset0:44 offset1:94
	ds_store_b64 v79, v[25:26] offset:3200
	s_waitcnt lgkmcnt(0)
	s_barrier
	buffer_gl0_inv
	ds_load_b64 v[72:73], v125
	ds_load_2addr_b64 v[16:19], v126 offset0:150 offset1:180
	ds_load_2addr_b64 v[24:27], v128 offset0:14 offset1:44
	;; [unrolled: 1-line block ×7, first 2 shown]
	s_waitcnt lgkmcnt(0)
	s_barrier
	buffer_gl0_inv
	ds_store_2addr_b64 v126, v[36:37], v[46:47] offset1:50
	ds_store_b64 v126, v[34:35] offset:800
	ds_store_2addr_b64 v80, v[38:39], v[48:49] offset1:50
	ds_store_b64 v80, v[50:51] offset:800
	ds_store_2addr_b64 v126, v[40:41], v[52:53] offset0:160 offset1:210
	ds_store_b64 v126, v[60:61] offset:2080
	ds_store_2addr_b64 v81, v[42:43], v[62:63] offset1:50
	ds_store_b64 v81, v[64:65] offset:800
	ds_store_2addr_b64 v82, v[44:45], v[77:78] offset0:44 offset1:94
	ds_store_b64 v79, v[66:67] offset:3200
	s_waitcnt lgkmcnt(0)
	s_barrier
	buffer_gl0_inv
	s_and_saveexec_b32 s6, vcc_lo
	s_cbranch_execz .LBB0_19
; %bb.18:
	v_lshlrev_b32_e32 v102, 1, v74
	v_mad_u64_u32 v[104:105], null, s8, v124, 0
	v_mad_u64_u32 v[106:107], null, s8, v123, 0
	s_delay_alu instid0(VALU_DEP_3)
	v_lshlrev_b64 v[30:31], 4, v[102:103]
	v_lshlrev_b32_e32 v102, 1, v120
	v_mad_u64_u32 v[108:109], null, s8, v127, 0
	v_add_nc_u32_e32 v97, 0x800, v126
	v_add_nc_u32_e32 v141, 0x12c, v121
	v_add_co_u32 v30, vcc_lo, s4, v30
	v_add_co_ci_u32_e32 v31, vcc_lo, s5, v31, vcc_lo
	v_lshlrev_b64 v[32:33], 4, v[102:103]
	v_lshlrev_b32_e32 v102, 1, v127
	s_clause 0x3
	global_load_b128 v[68:71], v[28:29], off offset:2256
	global_load_b128 v[64:67], v[30:31], off offset:2240
	;; [unrolled: 1-line block ×4, first 2 shown]
	v_mad_u64_u32 v[110:111], null, s8, v122, 0
	v_lshlrev_b64 v[28:29], 4, v[102:103]
	v_lshlrev_b32_e32 v102, 1, v124
	v_add_co_u32 v36, vcc_lo, s4, v32
	v_add_co_ci_u32_e32 v37, vcc_lo, s5, v33, vcc_lo
	s_delay_alu instid0(VALU_DEP_3)
	v_lshlrev_b64 v[38:39], 4, v[102:103]
	v_add_co_u32 v52, vcc_lo, s4, v28
	v_add_co_ci_u32_e32 v53, vcc_lo, s5, v29, vcc_lo
	s_clause 0x1
	global_load_b128 v[32:35], v[36:37], off offset:2240
	global_load_b128 v[28:31], v[36:37], off offset:2256
	v_add_co_u32 v54, vcc_lo, s4, v38
	v_add_co_ci_u32_e32 v55, vcc_lo, s5, v39, vcc_lo
	s_clause 0x3
	global_load_b128 v[40:43], v[52:53], off offset:2240
	global_load_b128 v[36:39], v[52:53], off offset:2256
	;; [unrolled: 1-line block ×4, first 2 shown]
	v_mad_u64_u32 v[102:103], null, s8, v121, 0
	ds_load_2addr_b64 v[60:63], v126 offset0:150 offset1:180
	ds_load_2addr_b64 v[77:80], v126 offset0:210 offset1:240
	;; [unrolled: 1-line block ×4, first 2 shown]
	ds_load_b64 v[114:115], v125
	ds_load_2addr_b64 v[89:92], v97 offset0:14 offset1:44
	ds_load_2addr_b64 v[93:96], v97 offset0:74 offset1:104
	v_mad_u64_u32 v[112:113], null, s8, v120, 0
	v_mul_hi_u32 v134, 0x1b4e81b5, v74
	v_add_co_u32 v75, vcc_lo, s10, v100
	v_add_nc_u32_e32 v142, 0x14a, v121
	v_add_co_ci_u32_e32 v76, vcc_lo, s11, v101, vcc_lo
	v_mad_u64_u32 v[118:119], null, s8, v141, 0
	v_mov_b32_e32 v101, v103
	v_mov_b32_e32 v103, v105
	v_dual_mov_b32 v105, v107 :: v_dual_add_nc_u32 v140, 0x96, v121
	v_mov_b32_e32 v107, v109
	v_mov_b32_e32 v109, v111
	;; [unrolled: 1-line block ×3, first 2 shown]
	v_lshrrev_b32_e32 v113, 4, v134
	v_mad_u64_u32 v[125:126], null, s8, v142, 0
	v_mad_u64_u32 v[134:135], null, s9, v121, v[101:102]
	;; [unrolled: 1-line block ×4, first 2 shown]
	v_add_nc_u32_e32 v143, 0xd2, v121
	v_add_nc_u32_e32 v145, 0x186, v121
	v_mad_u64_u32 v[116:117], null, s8, v140, 0
	v_add_nc_u32_e32 v144, 0xf0, v121
	v_mad_u64_u32 v[137:138], null, s9, v122, v[109:110]
	v_mad_u64_u32 v[121:122], null, s9, v120, v[111:112]
	v_mad_u32_u24 v150, 0x12c, v113, v74
	v_mov_b32_e32 v101, v117
	v_mov_b32_e32 v103, v119
	v_mad_u64_u32 v[123:124], null, s9, v127, v[107:108]
	v_mov_b32_e32 v74, v126
	ds_load_2addr_b64 v[97:100], v97 offset0:134 offset1:164
	v_mad_u64_u32 v[128:129], null, s8, v143, 0
	v_mad_u64_u32 v[130:131], null, s8, v144, 0
	;; [unrolled: 1-line block ×4, first 2 shown]
	s_delay_alu instid0(VALU_DEP_4)
	v_mov_b32_e32 v105, v129
	v_mov_b32_e32 v113, v121
	;; [unrolled: 1-line block ×5, first 2 shown]
	v_add_nc_u32_e32 v151, 0x96, v150
	v_mov_b32_e32 v117, v138
	s_delay_alu instid0(VALU_DEP_1)
	v_lshlrev_b64 v[116:117], 4, v[116:117]
	s_waitcnt vmcnt(9)
	v_mul_f64 v[119:120], v[26:27], v[70:71]
	s_waitcnt lgkmcnt(2)
	v_mul_f64 v[70:71], v[91:92], v[70:71]
	s_waitcnt vmcnt(8)
	v_mul_f64 v[126:127], v[24:25], v[66:67]
	s_waitcnt vmcnt(7)
	v_mul_f64 v[121:122], v[16:17], v[46:47]
	v_mul_f64 v[46:47], v[60:61], v[46:47]
	v_mul_f64 v[66:67], v[89:90], v[66:67]
	s_waitcnt vmcnt(3)
	v_mul_f64 v[146:147], v[12:13], v[42:43]
	s_waitcnt vmcnt(2)
	v_mul_f64 v[148:149], v[10:11], v[38:39]
	v_mul_f64 v[42:43], v[77:78], v[42:43]
	s_waitcnt lgkmcnt(1)
	v_mul_f64 v[38:39], v[95:96], v[38:39]
	v_fma_f64 v[91:92], v[91:92], v[68:69], -v[119:120]
	v_add_nc_u32_e32 v120, 0x12c, v150
	v_mad_u64_u32 v[139:140], null, s9, v141, v[103:104]
	v_mad_u64_u32 v[140:141], null, s9, v142, v[74:75]
	;; [unrolled: 1-line block ×5, first 2 shown]
	v_mov_b32_e32 v103, v134
	v_mov_b32_e32 v105, v135
	;; [unrolled: 1-line block ×4, first 2 shown]
	v_mul_f64 v[123:124], v[22:23], v[50:51]
	s_waitcnt lgkmcnt(0)
	v_mul_f64 v[50:51], v[99:100], v[50:51]
	v_mul_f64 v[134:135], v[14:15], v[34:35]
	;; [unrolled: 1-line block ×3, first 2 shown]
	v_fma_f64 v[26:27], v[26:27], v[68:69], v[70:71]
	s_waitcnt vmcnt(1)
	v_mul_f64 v[68:69], v[18:19], v[58:59]
	v_mul_f64 v[58:59], v[62:63], v[58:59]
	v_fma_f64 v[70:71], v[89:90], v[64:65], -v[126:127]
	s_waitcnt vmcnt(0)
	v_mul_f64 v[89:90], v[8:9], v[54:55]
	v_mul_f64 v[54:55], v[93:94], v[54:55]
	;; [unrolled: 1-line block ×4, first 2 shown]
	v_fma_f64 v[60:61], v[60:61], v[44:45], -v[121:122]
	v_fma_f64 v[16:17], v[16:17], v[44:45], v[46:47]
	v_fma_f64 v[24:25], v[24:25], v[64:65], v[66:67]
	;; [unrolled: 1-line block ×3, first 2 shown]
	v_lshlrev_b64 v[101:102], 4, v[102:103]
	v_lshlrev_b64 v[103:104], 4, v[104:105]
	v_mad_u64_u32 v[144:145], null, s8, v150, 0
	v_lshlrev_b64 v[105:106], 4, v[106:107]
	v_lshlrev_b64 v[107:108], 4, v[108:109]
	v_mad_u64_u32 v[64:65], null, s8, v151, 0
	v_mad_u64_u32 v[66:67], null, s8, v120, 0
	v_lshlrev_b64 v[109:110], 4, v[110:111]
	v_mov_b32_e32 v74, v145
	v_lshlrev_b64 v[111:112], 4, v[112:113]
	v_mov_b32_e32 v129, v141
	v_mov_b32_e32 v131, v142
	;; [unrolled: 1-line block ×3, first 2 shown]
	v_dual_mov_b32 v119, v139 :: v_dual_mov_b32 v126, v140
	s_delay_alu instid0(VALU_DEP_4) | instskip(NEXT) | instid1(VALU_DEP_2)
	v_lshlrev_b64 v[127:128], 4, v[128:129]
	v_lshlrev_b64 v[118:119], 4, v[118:119]
	v_fma_f64 v[44:45], v[99:100], v[48:49], -v[123:124]
	v_fma_f64 v[22:23], v[22:23], v[48:49], v[50:51]
	v_fma_f64 v[46:47], v[79:80], v[32:33], -v[134:135]
	v_fma_f64 v[48:49], v[97:98], v[28:29], -v[136:137]
	;; [unrolled: 1-line block ×5, first 2 shown]
	v_fma_f64 v[18:19], v[18:19], v[56:57], v[58:59]
	v_fma_f64 v[56:57], v[93:94], v[52:53], -v[89:90]
	v_fma_f64 v[52:53], v[8:9], v[52:53], v[54:55]
	v_fma_f64 v[8:9], v[14:15], v[32:33], v[34:35]
	;; [unrolled: 1-line block ×4, first 2 shown]
	v_add_f64 v[29:30], v[60:61], v[91:92]
	v_add_f64 v[31:32], v[16:17], v[26:27]
	v_add_co_u32 v89, vcc_lo, v75, v101
	v_add_co_ci_u32_e32 v90, vcc_lo, v76, v102, vcc_lo
	v_add_co_u32 v93, vcc_lo, v75, v103
	v_add_co_ci_u32_e32 v94, vcc_lo, v76, v104, vcc_lo
	;; [unrolled: 2-line block ×3, first 2 shown]
	v_add_co_u32 v97, vcc_lo, v75, v107
	v_mad_u64_u32 v[10:11], null, s9, v150, v[74:75]
	v_add_co_ci_u32_e32 v98, vcc_lo, v76, v108, vcc_lo
	v_mov_b32_e32 v11, v65
	v_add_co_u32 v99, vcc_lo, v75, v109
	v_mov_b32_e32 v28, v67
	v_add_co_ci_u32_e32 v100, vcc_lo, v76, v110, vcc_lo
	v_add_f64 v[33:34], v[70:71], v[44:45]
	v_add_f64 v[35:36], v[24:25], v[22:23]
	;; [unrolled: 1-line block ×3, first 2 shown]
	v_add_co_u32 v101, vcc_lo, v75, v111
	v_add_f64 v[39:40], v[50:51], v[77:78]
	v_add_co_ci_u32_e32 v102, vcc_lo, v76, v112, vcc_lo
	v_add_f64 v[41:42], v[62:63], v[56:57]
	v_add_f64 v[54:55], v[18:19], v[52:53]
	v_add_f64 v[58:59], v[8:9], v[14:15]
	v_add_f64 v[103:104], v[12:13], v[20:21]
	v_mad_u64_u32 v[105:106], null, s9, v151, v[11:12]
	v_add_f64 v[109:110], v[16:17], -v[26:27]
	v_add_f64 v[111:112], v[114:115], v[60:61]
	v_add_f64 v[16:17], v[72:73], v[16:17]
	v_mad_u64_u32 v[106:107], null, s9, v120, v[28:29]
	v_add_f64 v[60:61], v[60:61], -v[91:92]
	v_add_f64 v[120:121], v[6:7], v[24:25]
	v_add_f64 v[122:123], v[24:25], -v[22:23]
	v_add_f64 v[24:25], v[81:82], v[46:47]
	v_fma_f64 v[28:29], v[29:30], -0.5, v[114:115]
	v_fma_f64 v[30:31], v[31:32], -0.5, v[72:73]
	v_add_co_u32 v107, vcc_lo, v75, v116
	v_add_f64 v[135:136], v[2:3], v[12:13]
	v_add_f64 v[137:138], v[85:86], v[62:63]
	;; [unrolled: 1-line block ×3, first 2 shown]
	v_add_co_ci_u32_e32 v108, vcc_lo, v76, v117, vcc_lo
	v_add_f64 v[116:117], v[83:84], v[70:71]
	v_add_f64 v[62:63], v[62:63], -v[56:57]
	v_lshlrev_b64 v[68:69], 4, v[130:131]
	v_lshlrev_b64 v[79:80], 4, v[132:133]
	v_add_f64 v[129:130], v[4:5], v[8:9]
	v_add_f64 v[133:134], v[87:88], v[50:51]
	v_fma_f64 v[32:33], v[33:34], -0.5, v[83:84]
	v_add_f64 v[83:84], v[18:19], -v[52:53]
	v_fma_f64 v[141:142], v[35:36], -0.5, v[6:7]
	v_fma_f64 v[36:37], v[37:38], -0.5, v[81:82]
	v_add_f64 v[72:73], v[12:13], -v[20:21]
	v_fma_f64 v[81:82], v[39:40], -0.5, v[87:88]
	v_add_f64 v[131:132], v[8:9], -v[14:15]
	v_add_f64 v[113:114], v[46:47], -v[48:49]
	v_fma_f64 v[40:41], v[41:42], -0.5, v[85:86]
	v_fma_f64 v[54:55], v[54:55], -0.5, v[0:1]
	v_add_f64 v[85:86], v[50:51], -v[77:78]
	v_fma_f64 v[87:88], v[58:59], -0.5, v[4:5]
	v_fma_f64 v[58:59], v[103:104], -0.5, v[2:3]
	v_add_f64 v[70:71], v[70:71], -v[44:45]
	v_mov_b32_e32 v145, v10
	v_add_f64 v[2:3], v[111:112], v[91:92]
	v_add_f64 v[0:1], v[16:17], v[26:27]
	v_lshlrev_b64 v[125:126], 4, v[125:126]
	v_add_co_u32 v103, vcc_lo, v75, v118
	v_add_f64 v[4:5], v[120:121], v[22:23]
	v_add_co_ci_u32_e32 v104, vcc_lo, v76, v119, vcc_lo
	v_add_f64 v[10:11], v[24:25], v[48:49]
	v_fma_f64 v[26:27], v[109:110], s[0:1], v[28:29]
	v_fma_f64 v[24:25], v[60:61], s[2:3], v[30:31]
	v_fma_f64 v[22:23], v[109:110], s[2:3], v[28:29]
	v_add_f64 v[12:13], v[135:136], v[20:21]
	v_fma_f64 v[20:21], v[60:61], s[0:1], v[30:31]
	v_add_f64 v[18:19], v[137:138], v[56:57]
	v_add_f64 v[16:17], v[139:140], v[52:53]
	v_add_co_u32 v118, vcc_lo, v75, v125
	v_add_f64 v[6:7], v[116:117], v[44:45]
	v_add_co_ci_u32_e32 v119, vcc_lo, v76, v126, vcc_lo
	v_add_f64 v[8:9], v[129:130], v[14:15]
	v_add_f64 v[14:15], v[133:134], v[77:78]
	v_fma_f64 v[30:31], v[122:123], s[2:3], v[32:33]
	v_fma_f64 v[34:35], v[122:123], s[0:1], v[32:33]
	v_add_co_u32 v124, vcc_lo, v75, v127
	v_mov_b32_e32 v65, v105
	v_fma_f64 v[42:43], v[72:73], s[2:3], v[81:82]
	v_fma_f64 v[38:39], v[131:132], s[2:3], v[36:37]
	v_add_co_ci_u32_e32 v125, vcc_lo, v76, v128, vcc_lo
	v_fma_f64 v[50:51], v[83:84], s[0:1], v[40:41]
	v_fma_f64 v[48:49], v[62:63], s[2:3], v[54:55]
	v_fma_f64 v[46:47], v[83:84], s[2:3], v[40:41]
	v_fma_f64 v[44:45], v[62:63], s[0:1], v[54:55]
	v_fma_f64 v[54:55], v[72:73], s[0:1], v[81:82]
	v_fma_f64 v[52:53], v[85:86], s[2:3], v[58:59]
	v_fma_f64 v[40:41], v[85:86], s[0:1], v[58:59]
	v_fma_f64 v[58:59], v[131:132], s[0:1], v[36:37]
	v_fma_f64 v[56:57], v[113:114], s[2:3], v[87:88]
	v_fma_f64 v[36:37], v[113:114], s[0:1], v[87:88]
	v_fma_f64 v[32:33], v[70:71], s[2:3], v[141:142]
	v_fma_f64 v[28:29], v[70:71], s[0:1], v[141:142]
	v_add_co_u32 v60, vcc_lo, v75, v68
	v_lshlrev_b64 v[62:63], 4, v[144:145]
	v_mov_b32_e32 v67, v106
	v_add_co_ci_u32_e32 v61, vcc_lo, v76, v69, vcc_lo
	v_add_co_u32 v68, vcc_lo, v75, v79
	v_lshlrev_b64 v[64:65], 4, v[64:65]
	v_add_co_ci_u32_e32 v69, vcc_lo, v76, v80, vcc_lo
	v_lshlrev_b64 v[66:67], 4, v[66:67]
	v_add_co_u32 v62, vcc_lo, v75, v62
	v_add_co_ci_u32_e32 v63, vcc_lo, v76, v63, vcc_lo
	v_add_co_u32 v64, vcc_lo, v75, v64
	v_add_co_ci_u32_e32 v65, vcc_lo, v76, v65, vcc_lo
	;; [unrolled: 2-line block ×3, first 2 shown]
	s_clause 0xe
	global_store_b128 v[89:90], v[0:3], off
	global_store_b128 v[107:108], v[24:27], off
	;; [unrolled: 1-line block ×15, first 2 shown]
.LBB0_19:
	s_nop 0
	s_sendmsg sendmsg(MSG_DEALLOC_VGPRS)
	s_endpgm
	.section	.rodata,"a",@progbits
	.p2align	6, 0x0
	.amdhsa_kernel fft_rtc_back_len450_factors_10_5_3_3_wgs_120_tpt_30_halfLds_dp_ip_CI_sbrr_dirReg
		.amdhsa_group_segment_fixed_size 0
		.amdhsa_private_segment_fixed_size 0
		.amdhsa_kernarg_size 88
		.amdhsa_user_sgpr_count 15
		.amdhsa_user_sgpr_dispatch_ptr 0
		.amdhsa_user_sgpr_queue_ptr 0
		.amdhsa_user_sgpr_kernarg_segment_ptr 1
		.amdhsa_user_sgpr_dispatch_id 0
		.amdhsa_user_sgpr_private_segment_size 0
		.amdhsa_wavefront_size32 1
		.amdhsa_uses_dynamic_stack 0
		.amdhsa_enable_private_segment 0
		.amdhsa_system_sgpr_workgroup_id_x 1
		.amdhsa_system_sgpr_workgroup_id_y 0
		.amdhsa_system_sgpr_workgroup_id_z 0
		.amdhsa_system_sgpr_workgroup_info 0
		.amdhsa_system_vgpr_workitem_id 0
		.amdhsa_next_free_vgpr 168
		.amdhsa_next_free_sgpr 24
		.amdhsa_reserve_vcc 1
		.amdhsa_float_round_mode_32 0
		.amdhsa_float_round_mode_16_64 0
		.amdhsa_float_denorm_mode_32 3
		.amdhsa_float_denorm_mode_16_64 3
		.amdhsa_dx10_clamp 1
		.amdhsa_ieee_mode 1
		.amdhsa_fp16_overflow 0
		.amdhsa_workgroup_processor_mode 1
		.amdhsa_memory_ordered 1
		.amdhsa_forward_progress 0
		.amdhsa_shared_vgpr_count 0
		.amdhsa_exception_fp_ieee_invalid_op 0
		.amdhsa_exception_fp_denorm_src 0
		.amdhsa_exception_fp_ieee_div_zero 0
		.amdhsa_exception_fp_ieee_overflow 0
		.amdhsa_exception_fp_ieee_underflow 0
		.amdhsa_exception_fp_ieee_inexact 0
		.amdhsa_exception_int_div_zero 0
	.end_amdhsa_kernel
	.text
.Lfunc_end0:
	.size	fft_rtc_back_len450_factors_10_5_3_3_wgs_120_tpt_30_halfLds_dp_ip_CI_sbrr_dirReg, .Lfunc_end0-fft_rtc_back_len450_factors_10_5_3_3_wgs_120_tpt_30_halfLds_dp_ip_CI_sbrr_dirReg
                                        ; -- End function
	.section	.AMDGPU.csdata,"",@progbits
; Kernel info:
; codeLenInByte = 12060
; NumSgprs: 26
; NumVgprs: 168
; ScratchSize: 0
; MemoryBound: 1
; FloatMode: 240
; IeeeMode: 1
; LDSByteSize: 0 bytes/workgroup (compile time only)
; SGPRBlocks: 3
; VGPRBlocks: 20
; NumSGPRsForWavesPerEU: 26
; NumVGPRsForWavesPerEU: 168
; Occupancy: 9
; WaveLimiterHint : 1
; COMPUTE_PGM_RSRC2:SCRATCH_EN: 0
; COMPUTE_PGM_RSRC2:USER_SGPR: 15
; COMPUTE_PGM_RSRC2:TRAP_HANDLER: 0
; COMPUTE_PGM_RSRC2:TGID_X_EN: 1
; COMPUTE_PGM_RSRC2:TGID_Y_EN: 0
; COMPUTE_PGM_RSRC2:TGID_Z_EN: 0
; COMPUTE_PGM_RSRC2:TIDIG_COMP_CNT: 0
	.text
	.p2alignl 7, 3214868480
	.fill 96, 4, 3214868480
	.type	__hip_cuid_c7ff56dedd559402,@object ; @__hip_cuid_c7ff56dedd559402
	.section	.bss,"aw",@nobits
	.globl	__hip_cuid_c7ff56dedd559402
__hip_cuid_c7ff56dedd559402:
	.byte	0                               ; 0x0
	.size	__hip_cuid_c7ff56dedd559402, 1

	.ident	"AMD clang version 19.0.0git (https://github.com/RadeonOpenCompute/llvm-project roc-6.4.0 25133 c7fe45cf4b819c5991fe208aaa96edf142730f1d)"
	.section	".note.GNU-stack","",@progbits
	.addrsig
	.addrsig_sym __hip_cuid_c7ff56dedd559402
	.amdgpu_metadata
---
amdhsa.kernels:
  - .args:
      - .actual_access:  read_only
        .address_space:  global
        .offset:         0
        .size:           8
        .value_kind:     global_buffer
      - .offset:         8
        .size:           8
        .value_kind:     by_value
      - .actual_access:  read_only
        .address_space:  global
        .offset:         16
        .size:           8
        .value_kind:     global_buffer
      - .actual_access:  read_only
        .address_space:  global
        .offset:         24
        .size:           8
        .value_kind:     global_buffer
      - .offset:         32
        .size:           8
        .value_kind:     by_value
      - .actual_access:  read_only
        .address_space:  global
        .offset:         40
        .size:           8
        .value_kind:     global_buffer
      - .actual_access:  read_only
        .address_space:  global
        .offset:         48
        .size:           8
        .value_kind:     global_buffer
      - .offset:         56
        .size:           4
        .value_kind:     by_value
      - .actual_access:  read_only
        .address_space:  global
        .offset:         64
        .size:           8
        .value_kind:     global_buffer
      - .actual_access:  read_only
        .address_space:  global
        .offset:         72
        .size:           8
        .value_kind:     global_buffer
      - .address_space:  global
        .offset:         80
        .size:           8
        .value_kind:     global_buffer
    .group_segment_fixed_size: 0
    .kernarg_segment_align: 8
    .kernarg_segment_size: 88
    .language:       OpenCL C
    .language_version:
      - 2
      - 0
    .max_flat_workgroup_size: 120
    .name:           fft_rtc_back_len450_factors_10_5_3_3_wgs_120_tpt_30_halfLds_dp_ip_CI_sbrr_dirReg
    .private_segment_fixed_size: 0
    .sgpr_count:     26
    .sgpr_spill_count: 0
    .symbol:         fft_rtc_back_len450_factors_10_5_3_3_wgs_120_tpt_30_halfLds_dp_ip_CI_sbrr_dirReg.kd
    .uniform_work_group_size: 1
    .uses_dynamic_stack: false
    .vgpr_count:     168
    .vgpr_spill_count: 0
    .wavefront_size: 32
    .workgroup_processor_mode: 1
amdhsa.target:   amdgcn-amd-amdhsa--gfx1100
amdhsa.version:
  - 1
  - 2
...

	.end_amdgpu_metadata
